;; amdgpu-corpus repo=ROCm/rocFFT kind=compiled arch=gfx1201 opt=O3
	.text
	.amdgcn_target "amdgcn-amd-amdhsa--gfx1201"
	.amdhsa_code_object_version 6
	.protected	bluestein_single_back_len455_dim1_half_op_CI_CI ; -- Begin function bluestein_single_back_len455_dim1_half_op_CI_CI
	.globl	bluestein_single_back_len455_dim1_half_op_CI_CI
	.p2align	8
	.type	bluestein_single_back_len455_dim1_half_op_CI_CI,@function
bluestein_single_back_len455_dim1_half_op_CI_CI: ; @bluestein_single_back_len455_dim1_half_op_CI_CI
; %bb.0:
	s_load_b128 s[8:11], s[0:1], 0x28
	v_mul_u32_u24_e32 v1, 0x3f1, v0
	s_mov_b32 s2, exec_lo
	s_delay_alu instid0(VALU_DEP_1) | instskip(NEXT) | instid1(VALU_DEP_1)
	v_lshrrev_b32_e32 v1, 16, v1
	v_mad_co_u64_u32 v[12:13], null, ttmp9, 3, v[1:2]
	v_mov_b32_e32 v13, 0
	s_wait_kmcnt 0x0
	s_delay_alu instid0(VALU_DEP_1)
	v_cmpx_gt_u64_e64 s[8:9], v[12:13]
	s_cbranch_execz .LBB0_23
; %bb.1:
	v_mul_hi_u32 v2, 0xaaaaaaab, v12
	s_clause 0x1
	s_load_b64 s[20:21], s[0:1], 0x0
	s_load_b64 s[8:9], s[0:1], 0x38
	v_mul_lo_u16 v1, 0x41, v1
	s_delay_alu instid0(VALU_DEP_1) | instskip(NEXT) | instid1(VALU_DEP_3)
	v_sub_nc_u16 v0, v0, v1
	v_lshrrev_b32_e32 v2, 1, v2
	s_delay_alu instid0(VALU_DEP_2) | instskip(NEXT) | instid1(VALU_DEP_2)
	v_and_b32_e32 v32, 0xffff, v0
	v_lshl_add_u32 v2, v2, 1, v2
	v_cmp_gt_u16_e32 vcc_lo, 35, v0
	s_delay_alu instid0(VALU_DEP_3) | instskip(NEXT) | instid1(VALU_DEP_3)
	v_lshlrev_b32_e32 v31, 2, v32
	v_sub_nc_u32_e32 v1, v12, v2
	s_delay_alu instid0(VALU_DEP_1) | instskip(NEXT) | instid1(VALU_DEP_1)
	v_mul_u32_u24_e32 v21, 0x1c7, v1
	v_lshlrev_b32_e32 v33, 2, v21
	s_and_saveexec_b32 s3, vcc_lo
	s_cbranch_execz .LBB0_3
; %bb.2:
	s_load_b64 s[4:5], s[0:1], 0x18
	s_wait_kmcnt 0x0
	s_load_b128 s[4:7], s[4:5], 0x0
	s_wait_kmcnt 0x0
	v_mad_co_u64_u32 v[0:1], null, s6, v12, 0
	v_mad_co_u64_u32 v[2:3], null, s4, v32, 0
	s_delay_alu instid0(VALU_DEP_1) | instskip(NEXT) | instid1(VALU_DEP_1)
	v_mad_co_u64_u32 v[4:5], null, s7, v12, v[1:2]
	v_mad_co_u64_u32 v[5:6], null, s5, v32, v[3:4]
	v_mov_b32_e32 v1, v4
	s_mul_u64 s[4:5], s[4:5], 0x8c
	s_clause 0xb
	global_load_b32 v6, v31, s[20:21]
	global_load_b32 v7, v31, s[20:21] offset:140
	global_load_b32 v8, v31, s[20:21] offset:280
	;; [unrolled: 1-line block ×11, first 2 shown]
	v_lshlrev_b64_e32 v[0:1], 2, v[0:1]
	v_mov_b32_e32 v3, v5
	s_delay_alu instid0(VALU_DEP_2) | instskip(NEXT) | instid1(VALU_DEP_2)
	v_add_co_u32 v0, s2, s10, v0
	v_lshlrev_b64_e32 v[2:3], 2, v[2:3]
	s_delay_alu instid0(VALU_DEP_4) | instskip(NEXT) | instid1(VALU_DEP_2)
	v_add_co_ci_u32_e64 v1, s2, s11, v1, s2
	v_add_co_u32 v0, s2, v0, v2
	s_wait_alu 0xf1ff
	s_delay_alu instid0(VALU_DEP_2) | instskip(SKIP_1) | instid1(VALU_DEP_2)
	v_add_co_ci_u32_e64 v1, s2, v1, v3, s2
	s_wait_alu 0xfffe
	v_add_co_u32 v2, s2, v0, s4
	s_wait_alu 0xf1ff
	s_delay_alu instid0(VALU_DEP_2)
	v_add_co_ci_u32_e64 v3, s2, s5, v1, s2
	global_load_b32 v19, v[0:1], off
	v_add_co_u32 v0, s2, v2, s4
	s_wait_alu 0xf1ff
	v_add_co_ci_u32_e64 v1, s2, s5, v3, s2
	global_load_b32 v20, v[2:3], off
	global_load_b32 v22, v31, s[20:21] offset:1680
	global_load_b32 v23, v[0:1], off
	v_add_co_u32 v0, s2, v0, s4
	s_wait_alu 0xf1ff
	v_add_co_ci_u32_e64 v1, s2, s5, v1, s2
	s_delay_alu instid0(VALU_DEP_2) | instskip(SKIP_1) | instid1(VALU_DEP_2)
	v_add_co_u32 v2, s2, v0, s4
	s_wait_alu 0xf1ff
	v_add_co_ci_u32_e64 v3, s2, s5, v1, s2
	global_load_b32 v24, v[0:1], off
	v_add_co_u32 v0, s2, v2, s4
	s_wait_alu 0xf1ff
	v_add_co_ci_u32_e64 v1, s2, s5, v3, s2
	global_load_b32 v25, v[2:3], off
	global_load_b32 v26, v[0:1], off
	v_add_co_u32 v0, s2, v0, s4
	s_wait_alu 0xf1ff
	v_add_co_ci_u32_e64 v1, s2, s5, v1, s2
	s_delay_alu instid0(VALU_DEP_2) | instskip(SKIP_1) | instid1(VALU_DEP_2)
	v_add_co_u32 v2, s2, v0, s4
	s_wait_alu 0xf1ff
	v_add_co_ci_u32_e64 v3, s2, s5, v1, s2
	global_load_b32 v27, v[0:1], off
	v_add_co_u32 v0, s2, v2, s4
	s_wait_alu 0xf1ff
	v_add_co_ci_u32_e64 v1, s2, s5, v3, s2
	global_load_b32 v28, v[2:3], off
	;; [unrolled: 4-line block ×4, first 2 shown]
	v_add_co_u32 v2, s2, v0, s4
	s_wait_alu 0xf1ff
	v_add_co_ci_u32_e64 v3, s2, s5, v1, s2
	s_delay_alu instid0(VALU_DEP_2) | instskip(SKIP_1) | instid1(VALU_DEP_2)
	v_add_co_u32 v4, s2, v2, s4
	s_wait_alu 0xf1ff
	v_add_co_ci_u32_e64 v5, s2, s5, v3, s2
	global_load_b32 v0, v[0:1], off
	global_load_b32 v1, v[2:3], off
	;; [unrolled: 1-line block ×3, first 2 shown]
	v_lshl_add_u32 v4, v32, 2, v33
	v_add_nc_u32_e32 v3, v33, v31
	s_delay_alu instid0(VALU_DEP_1)
	v_add_nc_u32_e32 v5, 0x200, v3
	s_wait_loadcnt 0x19
	v_lshrrev_b32_e32 v34, 16, v6
	s_wait_loadcnt 0x18
	v_lshrrev_b32_e32 v35, 16, v7
	;; [unrolled: 2-line block ×13, first 2 shown]
	v_mul_f16_e32 v46, v34, v19
	s_wait_loadcnt 0xc
	v_lshrrev_b32_e32 v48, 16, v20
	s_delay_alu instid0(VALU_DEP_3) | instskip(NEXT) | instid1(VALU_DEP_3)
	v_mul_f16_e32 v34, v34, v43
	v_fma_f16 v43, v6, v43, -v46
	v_mul_f16_e32 v46, v35, v20
	s_wait_loadcnt 0xb
	v_lshrrev_b32_e32 v49, 16, v22
	v_fmac_f16_e32 v34, v6, v19
	v_mul_f16_e32 v6, v35, v48
	s_wait_loadcnt 0xa
	v_lshrrev_b32_e32 v19, 16, v23
	v_mul_f16_e32 v35, v36, v23
	v_fma_f16 v46, v7, v48, -v46
	v_pack_b32_f16 v34, v34, v43
	v_fmac_f16_e32 v6, v7, v20
	v_mul_f16_e32 v7, v36, v19
	s_wait_loadcnt 0x9
	v_lshrrev_b32_e32 v20, 16, v24
	v_fma_f16 v19, v8, v19, -v35
	v_mul_f16_e32 v35, v37, v24
	ds_store_b32 v4, v34
	v_pack_b32_f16 v4, v6, v46
	v_fmac_f16_e32 v7, v8, v23
	v_mul_f16_e32 v6, v37, v20
	s_wait_loadcnt 0x8
	v_lshrrev_b32_e32 v8, 16, v25
	v_mul_f16_e32 v23, v38, v25
	v_fma_f16 v20, v9, v20, -v35
	v_pack_b32_f16 v7, v7, v19
	v_fmac_f16_e32 v6, v9, v24
	v_mul_f16_e32 v9, v38, v8
	s_wait_loadcnt 0x7
	v_lshrrev_b32_e32 v19, 16, v26
	v_fma_f16 v8, v10, v8, -v23
	v_mul_f16_e32 v23, v39, v26
	ds_store_2addr_b32 v3, v4, v7 offset0:35 offset1:70
	v_pack_b32_f16 v4, v6, v20
	v_fmac_f16_e32 v9, v10, v25
	v_mul_f16_e32 v6, v39, v19
	s_wait_loadcnt 0x6
	v_lshrrev_b32_e32 v7, 16, v27
	v_fma_f16 v10, v11, v19, -v23
	v_mul_f16_e32 v19, v40, v27
	v_pack_b32_f16 v8, v9, v8
	v_fmac_f16_e32 v6, v11, v26
	v_mul_f16_e32 v9, v40, v7
	s_wait_loadcnt 0x5
	v_lshrrev_b32_e32 v11, 16, v28
	v_fma_f16 v7, v13, v7, -v19
	v_mul_f16_e32 v19, v41, v28
	;; [unrolled: 7-line block ×3, first 2 shown]
	v_pack_b32_f16 v7, v9, v7
	v_fmac_f16_e32 v10, v14, v28
	v_mul_f16_e32 v9, v42, v13
	s_wait_loadcnt 0x3
	v_lshrrev_b32_e32 v14, 16, v30
	v_mul_f16_e32 v20, v44, v30
	v_fma_f16 v13, v15, v13, -v19
	v_pack_b32_f16 v10, v10, v11
	v_fmac_f16_e32 v9, v15, v29
	v_mul_f16_e32 v11, v44, v14
	s_wait_loadcnt 0x2
	v_lshrrev_b32_e32 v15, 16, v0
	v_fma_f16 v14, v16, v14, -v20
	v_mul_f16_e32 v19, v45, v0
	v_pack_b32_f16 v9, v9, v13
	v_fmac_f16_e32 v11, v16, v30
	s_wait_loadcnt 0x1
	v_lshrrev_b32_e32 v13, 16, v1
	s_wait_loadcnt 0x0
	v_lshrrev_b32_e32 v16, 16, v2
	v_mul_f16_e32 v20, v45, v15
	v_fma_f16 v15, v17, v15, -v19
	v_mul_f16_e32 v19, v47, v1
	v_mul_f16_e32 v23, v47, v13
	;; [unrolled: 1-line block ×4, first 2 shown]
	v_fmac_f16_e32 v20, v17, v0
	v_fma_f16 v0, v18, v13, -v19
	v_fmac_f16_e32 v23, v18, v1
	v_fmac_f16_e32 v24, v22, v2
	v_fma_f16 v1, v22, v16, -v25
	v_pack_b32_f16 v2, v11, v14
	v_pack_b32_f16 v11, v20, v15
	v_add_nc_u32_e32 v13, 0x400, v3
	v_pack_b32_f16 v0, v23, v0
	v_pack_b32_f16 v1, v24, v1
	ds_store_2addr_b32 v3, v4, v8 offset0:105 offset1:140
	ds_store_2addr_b32 v3, v6, v7 offset0:175 offset1:210
	;; [unrolled: 1-line block ×5, first 2 shown]
.LBB0_3:
	s_or_b32 exec_lo, exec_lo, s3
	v_mov_b32_e32 v2, 0
	global_wb scope:SCOPE_SE
	s_wait_dscnt 0x0
	s_wait_kmcnt 0x0
	s_barrier_signal -1
	s_barrier_wait -1
	global_inv scope:SCOPE_SE
                                        ; implicit-def: $vgpr7
                                        ; implicit-def: $vgpr4
                                        ; implicit-def: $vgpr9
                                        ; implicit-def: $vgpr0
                                        ; implicit-def: $vgpr11
                                        ; implicit-def: $vgpr15
	s_and_saveexec_b32 s2, vcc_lo
	s_cbranch_execz .LBB0_5
; %bb.4:
	v_lshl_add_u32 v13, v21, 2, v31
	s_delay_alu instid0(VALU_DEP_1)
	v_add_nc_u32_e32 v0, 0x400, v13
	ds_load_2addr_b32 v[2:3], v13 offset1:35
	ds_load_2addr_b32 v[10:11], v13 offset0:70 offset1:105
	ds_load_2addr_b32 v[8:9], v13 offset0:140 offset1:175
	ds_load_2addr_b32 v[6:7], v13 offset0:210 offset1:245
	ds_load_2addr_b32 v[4:5], v0 offset0:24 offset1:59
	ds_load_2addr_b32 v[0:1], v0 offset0:94 offset1:129
	ds_load_b32 v15, v13 offset:1680
.LBB0_5:
	s_wait_alu 0xfffe
	s_or_b32 exec_lo, exec_lo, s2
	s_wait_dscnt 0x0
	v_pk_add_f16 v13, v3, v15 neg_lo:[0,1] neg_hi:[0,1]
	v_pk_add_f16 v49, v15, v3
	v_pk_add_f16 v34, v10, v1 neg_lo:[0,1] neg_hi:[0,1]
	v_pk_add_f16 v60, v1, v10
	v_pk_add_f16 v74, v11, v0 neg_lo:[0,1] neg_hi:[0,1]
	v_lshrrev_b32_e32 v14, 16, v13
	v_lshrrev_b32_e32 v56, 16, v49
	v_mul_f16_e32 v19, 0xb770, v13
	v_lshrrev_b32_e32 v28, 16, v34
	v_mul_f16_e32 v23, 0xb94e, v13
	v_mul_f16_e32 v18, 0xb770, v14
	;; [unrolled: 1-line block ×6, first 2 shown]
	v_fma_f16 v16, v56, 0x3b15, -v19
	v_lshrrev_b32_e32 v64, 16, v60
	v_mul_f16_e32 v25, 0xba95, v34
	v_mul_f16_e32 v72, 0x3bf1, v28
	v_fma_f16 v38, v49, 0xb9fd, -v14
	v_lshrrev_b32_e32 v55, 16, v2
	v_mul_f16_e32 v44, 0xbbf1, v13
	v_fmamk_f16 v20, v49, 0x3b15, v18
	v_fmamk_f16 v39, v56, 0xb9fd, v23
	v_mul_f16_e32 v40, 0xb3a8, v13
	v_fma_f16 v50, v56, 0xb9fd, -v23
	v_mul_f16_e32 v23, 0xba95, v28
	v_mul_f16_e32 v35, 0xbb7b, v28
	;; [unrolled: 1-line block ×3, first 2 shown]
	v_fma_f16 v59, v64, 0x388b, -v25
	v_mul_f16_e32 v57, 0x394e, v28
	v_mul_f16_e32 v28, 0x3bf1, v34
	v_fma_f16 v76, v60, 0x2fb7, -v72
	v_lshrrev_b32_e32 v37, 16, v74
	v_pk_add_f16 v61, v0, v11
	v_pk_add_f16 v89, v8, v5 neg_lo:[0,1] neg_hi:[0,1]
	v_add_f16_e32 v16, v16, v55
	v_add_f16_e32 v38, v38, v2
	v_pk_mul_f16 v80, 0xb3a8bb7b, v13
	v_mul_f16_e32 v30, 0xba95, v13
	v_fmamk_f16 v22, v49, 0x388b, v26
	v_fma_f16 v27, v56, 0x2fb7, -v44
	v_fma_f16 v52, v56, 0xbbc4, -v40
	v_fmamk_f16 v58, v60, 0x388b, v23
	v_mul_f16_e32 v51, 0xb3a8, v34
	v_fmamk_f16 v77, v64, 0x2fb7, v28
	v_mul_f16_e32 v84, 0x3770, v34
	v_fma_f16 v78, v64, 0x2fb7, -v28
	v_mul_f16_e32 v28, 0xbbf1, v37
	v_lshrrev_b32_e32 v65, 16, v61
	v_mul_f16_e32 v45, 0xb3a8, v37
	v_mul_f16_e32 v48, 0x3b7b, v37
	;; [unrolled: 1-line block ×5, first 2 shown]
	v_lshrrev_b32_e32 v94, 16, v89
	v_add_f16_e32 v20, v20, v2
	v_add_f16_e32 v16, v59, v16
	;; [unrolled: 1-line block ×3, first 2 shown]
	v_pk_fma_f16 v59, 0xb5acbbc4, v49, v80 op_sel:[0,0,1] op_sel_hi:[1,1,0] neg_lo:[0,0,1] neg_hi:[0,0,1]
	v_pk_mul_f16 v81, 0x3770394e, v34
	v_pk_add_f16 v76, v9, v4 neg_lo:[0,1] neg_hi:[0,1]
	v_fma_f16 v17, v56, 0x388b, -v30
	v_mul_f16_e32 v43, 0xbb7b, v34
	v_fmamk_f16 v63, v60, 0xb5ac, v35
	v_fma_f16 v73, v64, 0xbbc4, -v51
	v_fma_f16 v79, v64, 0x3b15, -v84
	v_mul_f16_e32 v29, 0xbbf1, v74
	v_fmamk_f16 v82, v61, 0x2fb7, v28
	v_mul_f16_e32 v54, 0x3b7b, v74
	v_fmamk_f16 v93, v65, 0x388b, v37
	v_pk_add_f16 v66, v5, v8
	v_fma_f16 v95, v65, 0x388b, -v37
	v_mul_f16_e32 v37, 0xbb7b, v94
	v_add_f16_e32 v20, v58, v20
	v_add_f16_e32 v22, v22, v2
	;; [unrolled: 1-line block ×4, first 2 shown]
	v_pk_add_f16 v50, v59, v2
	v_pk_fma_f16 v59, 0xb9fd3b15, v60, v81 op_sel:[0,0,1] op_sel_hi:[1,1,0] neg_lo:[0,0,1] neg_hi:[0,0,1]
	v_add_f16_e32 v52, v52, v55
	v_lshrrev_b32_e32 v102, 16, v76
	v_pk_add_f16 v103, v6, v7 neg_lo:[0,1] neg_hi:[0,1]
	v_fmamk_f16 v24, v49, 0x2fb7, v41
	v_fmac_f16_e32 v14, 0xb9fd, v49
	v_fma_f16 v67, v64, 0xb5ac, -v43
	v_mul_f16_e32 v47, 0xb3a8, v74
	v_fma_f16 v83, v65, 0x2fb7, -v29
	v_fmamk_f16 v85, v61, 0xbbc4, v45
	v_fma_f16 v90, v65, 0xb5ac, -v54
	v_fmamk_f16 v98, v66, 0xb5ac, v37
	v_mul_f16_e32 v58, 0x394e, v94
	v_add_f16_e32 v17, v17, v55
	v_add_f16_e32 v22, v63, v22
	;; [unrolled: 1-line block ×4, first 2 shown]
	v_pk_add_f16 v50, v59, v50
	v_add_f16_e32 v52, v79, v52
	v_add_f16_e32 v20, v82, v20
	v_pk_add_f16 v79, v4, v9
	v_mul_f16_e32 v59, 0xb94e, v102
	v_lshrrev_b32_e32 v104, 16, v103
	v_fmamk_f16 v69, v60, 0xbbc4, v46
	v_fmac_f16_e32 v72, 0x2fb7, v60
	v_fma_f16 v86, v65, 0xbbc4, -v47
	v_add_f16_e32 v24, v24, v2
	v_fmamk_f16 v100, v66, 0xb9fd, v58
	v_add_f16_e32 v17, v67, v17
	v_add_f16_e32 v14, v14, v2
	;; [unrolled: 1-line block ×5, first 2 shown]
	v_mul_f16_e32 v67, 0x3bf1, v102
	v_add_f16_e32 v83, v90, v13
	v_fmamk_f16 v13, v79, 0xb9fd, v59
	v_pk_add_f16 v77, v7, v6
	v_add_f16_e32 v20, v98, v20
	v_mul_f16_e32 v63, 0xb3a8, v104
	v_fmamk_f16 v36, v49, 0xb5ac, v53
	v_fmamk_f16 v87, v61, 0xb5ac, v48
	v_fma_f16 v92, v61, 0x388b, -v88
	v_fmac_f16_e32 v88, 0x388b, v61
	v_add_f16_e32 v24, v69, v24
	v_add_f16_e32 v14, v72, v14
	;; [unrolled: 1-line block ×3, first 2 shown]
	v_fmamk_f16 v72, v79, 0x2fb7, v67
	v_add_f16_e32 v22, v100, v22
	v_mul_f16_e32 v69, 0x3770, v104
	v_add_f16_e32 v13, v13, v20
	v_fmamk_f16 v20, v77, 0xbbc4, v63
	v_pk_mul_f16 v86, 0xb94e3770, v74
	v_fmamk_f16 v75, v60, 0xb9fd, v57
	v_mul_f16_e32 v97, 0xb94e, v74
	v_lshrrev_b32_e32 v68, 16, v66
	v_mul_f16_e32 v42, 0xbb7b, v89
	v_mul_f16_e32 v71, 0x3770, v94
	v_add_f16_e32 v36, v36, v2
	v_mul_f16_e32 v73, 0x3770, v89
	v_add_f16_e32 v24, v87, v24
	;; [unrolled: 2-line block ×3, first 2 shown]
	v_fmamk_f16 v72, v77, 0x3b15, v69
	v_add_f16_e32 v74, v88, v14
	v_mul_f16_e32 v85, 0x33a8, v89
	v_add_f16_e32 v14, v20, v13
	v_pk_fma_f16 v20, 0x3b15b9fd, v61, v86 op_sel:[0,0,1] op_sel_hi:[1,1,0] neg_lo:[0,0,1] neg_hi:[0,0,1]
	v_fmamk_f16 v91, v61, 0x3b15, v62
	v_fma_f16 v99, v68, 0xb5ac, -v42
	v_mul_f16_e32 v70, 0x394e, v89
	v_add_f16_e32 v27, v75, v36
	v_fmamk_f16 v36, v66, 0x3b15, v71
	v_add_f16_e32 v34, v78, v34
	v_mul_f16_e32 v75, 0xbbf1, v94
	v_fma_f16 v78, v68, 0x3b15, -v73
	v_add_f16_e32 v38, v92, v38
	v_add_f16_e32 v39, v93, v39
	;; [unrolled: 1-line block ×3, first 2 shown]
	v_fma_f16 v22, v66, 0xbbc4, -v87
	v_fmamk_f16 v90, v68, 0xbbc4, v85
	v_pk_add_f16 v20, v20, v50
	v_mul_f16_e32 v50, 0x3a95, v89
	v_lshrrev_b32_e32 v88, 16, v79
	v_mul_f16_e32 v72, 0xb94e, v76
	v_pk_mul_f16 v89, 0x3a95bbf1, v89
	v_fma_f16 v101, v68, 0xb9fd, -v70
	v_fmamk_f16 v82, v66, 0x2fb7, v75
	v_add_f16_e32 v27, v91, v27
	v_fmac_f16_e32 v87, 0xbbc4, v66
	v_add_f16_e32 v16, v99, v16
	v_fma_f16 v91, v68, 0xbbc4, -v85
	v_add_f16_e32 v24, v36, v24
	v_fma_f16 v36, v88, 0xb9fd, -v72
	v_add_f16_e32 v93, v78, v83
	v_mul_f16_e32 v78, 0x3bf1, v76
	v_mul_f16_e32 v83, 0xba95, v102
	v_add_f16_e32 v22, v22, v38
	v_mul_f16_e32 v85, 0xba95, v76
	v_add_f16_e32 v38, v90, v39
	v_pk_fma_f16 v39, 0x2fb7388b, v66, v89 op_sel:[0,0,1] op_sel_hi:[1,1,0] neg_lo:[0,0,1] neg_hi:[0,0,1]
	v_fma_f16 v96, v65, 0xb9fd, -v97
	v_add_f16_e32 v34, v95, v34
	v_add_f16_e32 v17, v101, v17
	;; [unrolled: 1-line block ×4, first 2 shown]
	v_fma_f16 v74, v88, 0x2fb7, -v78
	v_fmamk_f16 v90, v79, 0x388b, v83
	v_pk_add_f16 v20, v39, v20
	v_fma_f16 v39, v88, 0x388b, -v85
	v_mul_f16_e32 v87, 0x33a8, v102
	v_mul_f16_e32 v94, 0x3770, v102
	v_add_f16_e32 v16, v36, v16
	v_mul_f16_e32 v36, 0x3770, v76
	v_add_f16_e32 v52, v96, v52
	v_fma_f16 v92, v68, 0x388b, -v50
	v_add_f16_e32 v34, v91, v34
	v_add_f16_e32 v17, v74, v17
	v_fmamk_f16 v74, v79, 0xbbc4, v87
	v_add_f16_e32 v99, v90, v24
	v_fma_f16 v24, v79, 0x3b15, -v94
	v_add_f16_e32 v93, v39, v93
	v_fmamk_f16 v39, v88, 0x3b15, v36
	v_fmac_f16_e32 v94, 0x3b15, v79
	v_fma_f16 v36, v88, 0x3b15, -v36
	v_pk_mul_f16 v91, 0xbb7b33a8, v76
	v_mul_f16_e32 v98, 0xbb7b, v76
	v_add_f16_e32 v52, v92, v52
	v_add_f16_e32 v27, v74, v27
	;; [unrolled: 1-line block ×3, first 2 shown]
	v_lshrrev_b32_e32 v92, 16, v77
	v_add_f16_e32 v22, v39, v38
	v_pk_fma_f16 v24, 0xbbc4b5ac, v79, v91 op_sel:[0,0,1] op_sel_hi:[1,1,0] neg_lo:[0,0,1] neg_hi:[0,0,1]
	v_mul_f16_e32 v74, 0xb3a8, v103
	v_add_f16_e32 v101, v94, v82
	v_add_f16_e32 v34, v36, v34
	v_fma_f16 v36, v88, 0xb5ac, -v98
	v_mul_f16_e32 v82, 0x3770, v103
	v_pk_fma_f16 v38, 0xb5acbbc4, v49, v80 op_sel:[0,0,1] op_sel_hi:[1,1,0]
	v_mul_f16_e32 v39, 0x3b15, v64
	v_fmamk_f16 v40, v56, 0xbbc4, v40
	v_pk_mul_f16 v95, 0xb9fd3b15, v60
	v_pk_add_f16 v20, v24, v20
	v_fma_f16 v24, v92, 0xbbc4, -v74
	v_add_f16_e32 v36, v36, v52
	v_fma_f16 v52, v92, 0x3b15, -v82
	v_pack_b32_f16 v76, v84, v38
	v_perm_b32 v84, v2, v39, 0x5040100
	v_pack_b32_f16 v40, v40, v95
	v_mul_f16_e32 v90, 0xb94e, v103
	v_perm_b32 v94, v81, v2, 0x7060302
	v_add_f16_e32 v38, v24, v16
	v_add_f16_e32 v39, v52, v17
	v_pk_add_f16 v16, v76, v84
	v_fma_f16 v17, v92, 0xb9fd, -v90
	v_pk_add_f16 v24, v40, v94
	v_pk_mul_f16 v96, 0x3b15b9fd, v61
	v_mul_f16_e32 v52, 0xb9fd, v65
	v_mul_f16_e32 v76, 0x3a95, v104
	v_add_f16_e32 v40, v17, v93
	v_pk_add_f16 v16, v24, v16
	v_pack_b32_f16 v17, v97, v96
	v_bfi_b32 v24, 0xffff, v52, v86
	v_fmamk_f16 v52, v77, 0x388b, v76
	v_pk_mul_f16 v97, 0x2fb7388b, v66
	v_mul_f16_e32 v84, 0x388b, v68
	v_mul_f16_e32 v93, 0xbb7b, v103
	v_pk_add_f16 v17, v17, v24
	v_add_f16_e32 v24, v52, v27
	v_pack_b32_f16 v27, v50, v97
	v_bfi_b32 v50, 0xffff, v84, v89
	v_fmamk_f16 v52, v92, 0xb5ac, v93
	v_pk_mul_f16 v94, 0xbbc4b5ac, v79
	v_mul_f16_e32 v84, 0xb5ac, v88
	v_pk_add_f16 v16, v17, v16
	v_pk_add_f16 v17, v27, v50
	v_add_f16_e32 v22, v52, v22
	v_pack_b32_f16 v27, v98, v94
	v_bfi_b32 v50, 0xffff, v84, v91
	v_fma_f16 v52, v92, 0xb5ac, -v93
	v_pk_mul_f16 v98, 0x3bf13a95, v103
	v_mul_f16_e32 v102, 0x3bf1, v103
	v_mul_f16_e32 v93, 0x2fb7, v92
	v_pk_mul_f16 v84, 0x388b2fb7, v77
	s_clause 0x1
	s_load_b64 s[4:5], s[0:1], 0x20
	s_load_b64 s[2:3], s[0:1], 0x8
	v_pk_add_f16 v16, v17, v16
	v_pk_add_f16 v17, v27, v50
	v_add_f16_e32 v27, v52, v34
	v_bfi_b32 v34, 0xffff, v93, v98
	v_pack_b32_f16 v50, v102, v84
	v_pk_fma_f16 v52, 0x388b2fb7, v77, v98 op_sel:[0,0,1] op_sel_hi:[1,1,0] neg_lo:[0,0,1] neg_hi:[0,0,1]
	v_mul_f16_e32 v93, 0xb94e, v104
	v_mul_f16_e32 v103, 0xbb7b, v104
	v_pk_add_f16 v16, v17, v16
	v_pk_add_f16 v17, v50, v34
	v_pk_add_f16 v34, v52, v20
	v_fma_f16 v20, v92, 0x2fb7, -v102
	v_fmamk_f16 v102, v77, 0xb9fd, v93
	v_fma_f16 v104, v77, 0xb5ac, -v103
	v_fmac_f16_e32 v103, 0xb5ac, v77
	v_pk_add_f16 v52, v17, v16
	v_add_f16_e32 v50, v20, v36
	v_add_f16_e32 v16, v102, v99
	;; [unrolled: 1-line block ×4, first 2 shown]
	v_mul_lo_u16 v36, v32, 13
	global_wb scope:SCOPE_SE
	s_wait_kmcnt 0x0
	s_barrier_signal -1
	s_barrier_wait -1
	global_inv scope:SCOPE_SE
	s_and_saveexec_b32 s0, vcc_lo
	s_cbranch_execz .LBB0_7
; %bb.6:
	v_pk_add_f16 v3, v3, v2
	v_mul_f16_e32 v100, 0x3b15, v56
	v_mul_f16_e32 v99, 0x3b15, v49
	;; [unrolled: 1-line block ×4, first 2 shown]
	v_pk_add_f16 v3, v10, v3
	v_mul_f16_e32 v104, 0xb5ac, v49
	v_pk_mul_f16 v49, 0xb5acbbc4, v49
	v_mul_f16_e32 v106, 0x388b, v64
	v_add_f16_e32 v19, v19, v100
	v_pk_add_f16 v3, v11, v3
	v_mul_f16_e32 v102, 0x388b, v56
	v_mul_f16_e32 v56, 0x2fb7, v56
	v_bfi_b32 v53, 0xffff, v53, v49
	v_alignbit_b32 v80, v80, v80, 16
	v_pk_add_f16 v3, v8, v3
	v_mul_f16_e32 v105, 0x388b, v60
	v_mul_f16_e32 v111, 0x2fb7, v65
	v_add_f16_e32 v10, v19, v55
	v_add_f16_e32 v19, v25, v106
	v_sub_f16_e32 v11, v99, v18
	v_pk_add_f16 v3, v9, v3
	v_mul_f16_e32 v107, 0xb5ac, v60
	v_mul_f16_e32 v108, 0xb5ac, v64
	;; [unrolled: 1-line block ×4, first 2 shown]
	v_add_f16_e32 v44, v44, v56
	v_sub_f16_e32 v41, v103, v41
	v_add_f16_e32 v30, v30, v102
	v_sub_f16_e32 v26, v101, v26
	v_mul_f16_e32 v60, 0xb9fd, v60
	v_pk_add_f16 v53, v104, v53 neg_lo:[0,1] neg_hi:[0,1]
	v_bfi_b32 v57, 0xffff, v57, v95
	v_pk_add_f16 v49, v80, v49
	v_alignbit_b32 v81, v81, v81, 16
	v_mul_f16_e32 v110, 0x2fb7, v61
	v_mul_f16_e32 v116, 0xb5ac, v68
	v_add_f16_e32 v10, v19, v10
	v_add_f16_e32 v18, v29, v111
	;; [unrolled: 1-line block ×3, first 2 shown]
	v_sub_f16_e32 v11, v105, v23
	v_pk_add_f16 v3, v6, v3
	v_mul_f16_e32 v112, 0xbbc4, v61
	v_mul_f16_e32 v113, 0xbbc4, v65
	;; [unrolled: 1-line block ×4, first 2 shown]
	v_add_f16_e32 v51, v51, v64
	v_add_f16_e32 v44, v44, v55
	;; [unrolled: 1-line block ×3, first 2 shown]
	v_sub_f16_e32 v46, v109, v46
	v_add_f16_e32 v30, v30, v55
	v_add_f16_e32 v43, v43, v108
	;; [unrolled: 1-line block ×3, first 2 shown]
	v_sub_f16_e32 v35, v107, v35
	v_mul_f16_e32 v61, 0x3b15, v61
	v_pk_add_f16 v57, v60, v57 neg_lo:[0,1] neg_hi:[0,1]
	v_pk_add_f16 v81, v81, v95
	v_bfi_b32 v49, 0xffff, v53, v49
	v_bfi_b32 v53, 0xffff, v62, v96
	v_alignbit_b32 v86, v86, v86, 16
	v_mul_f16_e32 v115, 0xb5ac, v66
	v_mul_f16_e32 v104, 0xb9fd, v66
	;; [unrolled: 1-line block ×5, first 2 shown]
	v_bfi_b32 v75, 0xffff, v75, v97
	v_add_f16_e32 v10, v18, v10
	v_add_f16_e32 v18, v42, v116
	;; [unrolled: 1-line block ×3, first 2 shown]
	v_sub_f16_e32 v11, v110, v28
	v_pk_add_f16 v3, v7, v3
	v_mul_f16_e32 v80, 0xb9fd, v68
	v_mul_f16_e32 v68, 0x3b15, v68
	v_add_f16_e32 v44, v51, v44
	v_add_f16_e32 v51, v54, v65
	;; [unrolled: 1-line block ×3, first 2 shown]
	v_sub_f16_e32 v46, v114, v48
	v_add_f16_e32 v30, v43, v30
	v_add_f16_e32 v43, v47, v113
	;; [unrolled: 1-line block ×3, first 2 shown]
	v_sub_f16_e32 v35, v112, v45
	v_bfi_b32 v57, 0xffff, v57, v81
	v_pk_add_f16 v53, v61, v53 neg_lo:[0,1] neg_hi:[0,1]
	v_pk_add_f16 v86, v86, v96
	v_alignbit_b32 v89, v89, v89, 16
	v_pk_add_f16 v2, v49, v2
	v_mul_f16_e32 v95, 0xb9fd, v79
	v_pk_add_f16 v66, v66, v75 neg_lo:[0,1] neg_hi:[0,1]
	v_mul_f16_e32 v75, 0xbbc4, v92
	v_add_f16_e32 v10, v18, v10
	v_add_f16_e32 v6, v72, v62
	;; [unrolled: 1-line block ×3, first 2 shown]
	v_sub_f16_e32 v11, v115, v37
	v_pk_add_f16 v3, v4, v3
	v_mul_f16_e32 v81, 0x2fb7, v79
	v_mul_f16_e32 v61, 0x2fb7, v88
	;; [unrolled: 1-line block ×4, first 2 shown]
	v_add_f16_e32 v44, v51, v44
	v_add_f16_e32 v51, v73, v68
	;; [unrolled: 1-line block ×3, first 2 shown]
	v_sub_f16_e32 v46, v60, v71
	v_add_f16_e32 v30, v43, v30
	v_add_f16_e32 v43, v70, v80
	;; [unrolled: 1-line block ×3, first 2 shown]
	v_sub_f16_e32 v35, v104, v58
	v_mul_f16_e32 v79, 0xbbc4, v79
	v_bfi_b32 v53, 0xffff, v53, v86
	v_pk_add_f16 v89, v89, v97
	v_alignbit_b32 v91, v91, v91, 16
	v_bfi_b32 v87, 0xffff, v87, v94
	v_pk_add_f16 v2, v57, v2
	v_mul_f16_e32 v86, 0xbbc4, v77
	v_add_f16_e32 v6, v6, v10
	v_add_f16_e32 v7, v74, v75
	;; [unrolled: 1-line block ×3, first 2 shown]
	v_sub_f16_e32 v4, v95, v59
	v_pk_add_f16 v3, v5, v3
	v_mul_f16_e32 v97, 0x3b15, v77
	v_mul_f16_e32 v56, 0x3b15, v92
	;; [unrolled: 1-line block ×4, first 2 shown]
	v_add_f16_e32 v44, v51, v44
	v_add_f16_e32 v48, v85, v88
	v_add_f16_e32 v41, v46, v41
	v_sub_f16_e32 v46, v96, v83
	v_add_f16_e32 v30, v43, v30
	v_add_f16_e32 v43, v78, v61
	;; [unrolled: 1-line block ×3, first 2 shown]
	v_sub_f16_e32 v19, v81, v67
	v_mul_f16_e32 v77, 0x388b, v77
	v_alignbit_b32 v98, v98, v98, 16
	v_bfi_b32 v54, 0xffff, v66, v89
	v_pk_add_f16 v65, v79, v87 neg_lo:[0,1] neg_hi:[0,1]
	v_pk_add_f16 v66, v91, v94
	v_pk_add_f16 v2, v53, v2
	v_bfi_b32 v5, 0xffff, v76, v84
	v_add_f16_e32 v6, v7, v6
	v_add_f16_e32 v4, v4, v8
	v_sub_f16_e32 v7, v86, v63
	v_pk_add_f16 v0, v0, v3
	v_add_f16_e32 v44, v48, v44
	v_add_f16_e32 v47, v90, v92
	;; [unrolled: 1-line block ×3, first 2 shown]
	v_sub_f16_e32 v46, v64, v93
	v_add_f16_e32 v30, v43, v30
	v_add_f16_e32 v43, v82, v56
	v_add_f16_e32 v9, v19, v26
	v_sub_f16_e32 v18, v97, v69
	v_bfi_b32 v51, 0xffff, v65, v66
	v_pk_add_f16 v2, v54, v2
	v_pk_add_f16 v5, v77, v5 neg_lo:[0,1] neg_hi:[0,1]
	v_pk_add_f16 v8, v98, v84
	v_and_b32_e32 v3, 0xffff, v36
	v_pk_add_f16 v0, v1, v0
	v_add_f16_e32 v1, v7, v4
	v_add_f16_e32 v44, v47, v44
	;; [unrolled: 1-line block ×5, first 2 shown]
	v_pk_add_f16 v2, v51, v2
	v_bfi_b32 v4, 0xffff, v5, v8
	v_add_lshl_u32 v3, v21, v3, 2
	v_pk_add_f16 v0, v15, v0
	v_pack_b32_f16 v1, v1, v6
	v_pack_b32_f16 v5, v41, v44
	;; [unrolled: 1-line block ×3, first 2 shown]
	v_pk_add_f16 v2, v4, v2
	v_perm_b32 v4, v22, v17, 0x5040100
	v_perm_b32 v7, v52, v34, 0x5040100
	v_alignbit_b32 v8, v50, v52, 16
	v_bfi_b32 v9, 0xffff, v24, v34
	v_perm_b32 v10, v27, v20, 0x5040100
	v_perm_b32 v11, v39, v13, 0x5040100
	;; [unrolled: 1-line block ×4, first 2 shown]
	ds_store_2addr_b32 v3, v0, v1 offset1:1
	ds_store_2addr_b32 v3, v6, v5 offset0:2 offset1:3
	ds_store_2addr_b32 v3, v2, v4 offset0:4 offset1:5
	ds_store_2addr_b32 v3, v7, v8 offset0:6 offset1:7
	ds_store_2addr_b32 v3, v10, v9 offset0:8 offset1:9
	ds_store_2addr_b32 v3, v15, v11 offset0:10 offset1:11
	ds_store_b32 v3, v18 offset:48
.LBB0_7:
	s_wait_alu 0xfffe
	s_or_b32 exec_lo, exec_lo, s0
	v_add_lshl_u32 v35, v21, v32, 2
	global_wb scope:SCOPE_SE
	s_wait_dscnt 0x0
	s_barrier_signal -1
	s_barrier_wait -1
	global_inv scope:SCOPE_SE
	v_add_nc_u32_e32 v0, 0x200, v35
	v_cmp_gt_u16_e64 s0, 26, v32
	v_lshrrev_b32_e32 v19, 16, v52
	ds_load_2addr_b32 v[8:9], v35 offset1:91
	ds_load_2addr_b32 v[10:11], v0 offset0:54 offset1:145
	ds_load_b32 v15, v35 offset:1456
	s_and_saveexec_b32 s1, s0
	s_cbranch_execz .LBB0_9
; %bb.8:
	ds_load_2addr_b32 v[17:18], v35 offset0:65 offset1:156
	ds_load_2addr_b32 v[19:20], v0 offset0:119 offset1:210
	ds_load_b32 v24, v35 offset:1716
	s_wait_dscnt 0x2
	v_lshrrev_b32_e32 v22, 16, v17
	v_lshrrev_b32_e32 v52, 16, v18
	s_wait_dscnt 0x1
	v_lshrrev_b32_e32 v50, 16, v19
	v_lshrrev_b32_e32 v27, 16, v20
	s_wait_dscnt 0x0
	v_bfi_b32 v34, 0xffff, v18, v24
.LBB0_9:
	s_wait_alu 0xfffe
	s_or_b32 exec_lo, exec_lo, s1
	v_and_b32_e32 v0, 0xff, v32
	v_add_nc_u16 v1, v32, 0x41
	s_wait_dscnt 0x2
	v_lshrrev_b32_e32 v26, 16, v9
	s_wait_dscnt 0x1
	v_lshrrev_b32_e32 v28, 16, v10
	;; [unrolled: 2-line block ×3, first 2 shown]
	v_mul_lo_u16 v0, 0x4f, v0
	v_lshrrev_b32_e32 v30, 16, v34
	v_lshrrev_b32_e32 v54, 16, v8
	s_load_b128 s[4:7], s[4:5], 0x0
	s_delay_alu instid0(VALU_DEP_3) | instskip(SKIP_1) | instid1(VALU_DEP_2)
	v_lshrrev_b16 v18, 10, v0
	v_and_b32_e32 v0, 0xff, v1
	v_mul_lo_u16 v2, v18, 13
	s_delay_alu instid0(VALU_DEP_2) | instskip(SKIP_1) | instid1(VALU_DEP_3)
	v_mul_lo_u16 v0, 0x4f, v0
	v_and_b32_e32 v18, 0xffff, v18
	v_sub_nc_u16 v2, v32, v2
	s_delay_alu instid0(VALU_DEP_3) | instskip(NEXT) | instid1(VALU_DEP_3)
	v_lshrrev_b16 v23, 10, v0
	v_mul_u32_u24_e32 v18, 0x41, v18
	s_delay_alu instid0(VALU_DEP_3) | instskip(NEXT) | instid1(VALU_DEP_3)
	v_and_b32_e32 v25, 0xff, v2
	v_mul_lo_u16 v0, v23, 13
	v_and_b32_e32 v41, 0xffff, v23
	s_delay_alu instid0(VALU_DEP_3) | instskip(NEXT) | instid1(VALU_DEP_3)
	v_lshlrev_b32_e32 v2, 4, v25
	v_sub_nc_u16 v0, v1, v0
	v_add_nc_u32_e32 v18, v18, v25
	v_lshrrev_b32_e32 v25, 16, v11
	global_load_b128 v[4:7], v2, s[2:3]
	v_and_b32_e32 v37, 0xff, v0
	v_add_lshl_u32 v46, v21, v18, 2
	s_delay_alu instid0(VALU_DEP_2)
	v_lshlrev_b32_e32 v0, 4, v37
	global_load_b128 v[0:3], v0, s[2:3]
	global_wb scope:SCOPE_SE
	s_wait_loadcnt 0x0
	s_wait_kmcnt 0x0
	s_barrier_signal -1
	s_barrier_wait -1
	global_inv scope:SCOPE_SE
	v_lshrrev_b32_e32 v49, 16, v4
	v_lshrrev_b32_e32 v51, 16, v5
	;; [unrolled: 1-line block ×4, first 2 shown]
	s_delay_alu instid0(VALU_DEP_4)
	v_mul_f16_e32 v18, v26, v49
	v_mul_f16_e32 v53, v9, v49
	v_mul_f16_e32 v23, v28, v51
	v_mul_f16_e32 v55, v10, v51
	v_mul_f16_e32 v56, v25, v48
	v_mul_f16_e32 v57, v11, v48
	v_mul_f16_e32 v58, v29, v47
	v_mul_f16_e32 v59, v15, v47
	v_lshrrev_b32_e32 v42, 16, v0
	v_lshrrev_b32_e32 v45, 16, v1
	;; [unrolled: 1-line block ×4, first 2 shown]
	v_fma_f16 v60, v9, v4, -v18
	v_fmac_f16_e32 v53, v26, v4
	v_fma_f16 v61, v10, v5, -v23
	v_fmac_f16_e32 v55, v28, v5
	;; [unrolled: 2-line block ×4, first 2 shown]
	v_mul_f16_e32 v11, v52, v42
	v_mul_f16_e32 v26, v34, v42
	;; [unrolled: 1-line block ×8, first 2 shown]
	v_fma_f16 v28, v34, v0, -v11
	v_fmac_f16_e32 v26, v52, v0
	v_fma_f16 v25, v19, v1, -v23
	v_fmac_f16_e32 v18, v50, v1
	;; [unrolled: 2-line block ×4, first 2 shown]
	v_add_f16_e32 v19, v8, v60
	v_add_f16_e32 v20, v61, v56
	;; [unrolled: 1-line block ×3, first 2 shown]
	v_sub_f16_e32 v30, v61, v60
	v_sub_f16_e32 v34, v56, v15
	v_add_f16_e32 v50, v54, v53
	v_add_f16_e32 v52, v55, v57
	;; [unrolled: 1-line block ×3, first 2 shown]
	v_sub_f16_e32 v58, v53, v59
	v_sub_f16_e32 v62, v55, v57
	v_sub_f16_e32 v24, v60, v61
	v_sub_f16_e32 v27, v15, v56
	v_sub_f16_e32 v60, v60, v15
	v_sub_f16_e32 v63, v61, v56
	v_sub_f16_e32 v64, v53, v55
	v_sub_f16_e32 v65, v59, v57
	v_sub_f16_e32 v53, v55, v53
	v_sub_f16_e32 v67, v57, v59
	v_add_f16_e32 v19, v19, v61
	v_fma_f16 v61, -0.5, v20, v8
	v_fmac_f16_e32 v8, -0.5, v29
	v_add_f16_e32 v69, v30, v34
	v_add_f16_e32 v20, v50, v55
	v_fma_f16 v55, -0.5, v52, v54
	v_fmac_f16_e32 v54, -0.5, v66
	v_add_f16_e32 v30, v25, v23
	v_sub_f16_e32 v50, v28, v25
	v_sub_f16_e32 v52, v11, v23
	v_add_f16_e32 v66, v28, v11
	v_add_f16_e32 v71, v18, v10
	;; [unrolled: 1-line block ×6, first 2 shown]
	v_sub_f16_e32 v27, v26, v9
	v_sub_f16_e32 v29, v18, v10
	;; [unrolled: 1-line block ×6, first 2 shown]
	v_add_f16_e32 v19, v19, v56
	v_fmamk_f16 v56, v58, 0x3b9c, v61
	v_fmac_f16_e32 v61, 0xbb9c, v58
	v_fmamk_f16 v77, v62, 0xbb9c, v8
	v_fmac_f16_e32 v8, 0x3b9c, v62
	v_add_f16_e32 v78, v20, v57
	v_fmamk_f16 v79, v60, 0xbb9c, v55
	v_fma_f16 v30, -0.5, v30, v17
	v_add_f16_e32 v53, v50, v52
	v_fma_f16 v20, -0.5, v66, v17
	v_fma_f16 v52, -0.5, v71, v22
	v_fma_f16 v57, -0.5, v74, v22
	v_fmamk_f16 v80, v63, 0x3b9c, v54
	v_fmac_f16_e32 v54, 0xbb9c, v63
	v_fmac_f16_e32 v55, 0x3b9c, v60
	v_sub_f16_e32 v72, v26, v18
	v_sub_f16_e32 v73, v9, v10
	;; [unrolled: 1-line block ×4, first 2 shown]
	v_add_f16_e32 v66, v67, v70
	v_add_f16_e32 v70, v19, v15
	v_fmac_f16_e32 v56, 0x38b4, v62
	v_fmac_f16_e32 v61, 0xb8b4, v62
	;; [unrolled: 1-line block ×4, first 2 shown]
	v_add_f16_e32 v62, v78, v59
	v_fmac_f16_e32 v79, 0xb8b4, v63
	v_fmamk_f16 v15, v27, 0xbb9c, v30
	v_fmamk_f16 v19, v29, 0xbb9c, v20
	v_fmac_f16_e32 v20, 0x3b9c, v29
	v_fmamk_f16 v58, v34, 0x3b9c, v52
	v_fmamk_f16 v59, v24, 0x3b9c, v57
	v_fmac_f16_e32 v57, 0xbb9c, v24
	v_fmac_f16_e32 v80, 0xb8b4, v60
	v_fmac_f16_e32 v54, 0x38b4, v60
	v_fmac_f16_e32 v55, 0x38b4, v63
	v_add_f16_e32 v50, v72, v73
	v_add_f16_e32 v67, v75, v76
	v_fmac_f16_e32 v56, 0x34f2, v68
	v_fmac_f16_e32 v79, 0x34f2, v64
	;; [unrolled: 1-line block ×14, first 2 shown]
	v_pack_b32_f16 v60, v70, v62
	v_fmac_f16_e32 v15, 0x34f2, v53
	v_fmac_f16_e32 v19, 0x34f2, v66
	;; [unrolled: 1-line block ×5, first 2 shown]
	v_pack_b32_f16 v56, v56, v79
	v_fmac_f16_e32 v57, 0x34f2, v67
	v_pack_b32_f16 v62, v77, v80
	v_pack_b32_f16 v8, v8, v54
	;; [unrolled: 1-line block ×3, first 2 shown]
	ds_store_2addr_b32 v46, v60, v56 offset1:13
	ds_store_2addr_b32 v46, v62, v8 offset0:26 offset1:39
	ds_store_b32 v46, v54 offset:208
	s_and_saveexec_b32 s1, s0
	s_cbranch_execz .LBB0_11
; %bb.10:
	v_mul_f16_e32 v8, 0x3b9c, v27
	v_mul_f16_e32 v27, 0x38b4, v29
	;; [unrolled: 1-line block ×3, first 2 shown]
	v_add_f16_e32 v22, v22, v26
	v_add_f16_e32 v17, v17, v28
	v_mul_f16_e32 v24, 0x38b4, v24
	v_add_f16_e32 v8, v30, v8
	v_sub_f16_e32 v28, v52, v29
	v_add_f16_e32 v18, v22, v18
	v_add_f16_e32 v17, v17, v25
	v_mul_f16_e32 v26, 0x34f2, v53
	v_mul_f16_e32 v22, 0x34f2, v50
	v_sub_f16_e32 v24, v28, v24
	v_add_f16_e32 v10, v18, v10
	v_mul_u32_u24_e32 v18, 0x41, v41
	v_add_f16_e32 v17, v17, v23
	v_add_f16_e32 v8, v27, v8
	;; [unrolled: 1-line block ×4, first 2 shown]
	v_add_nc_u32_e32 v10, v18, v37
	v_add_f16_e32 v11, v17, v11
	v_add_f16_e32 v8, v26, v8
	v_perm_b32 v17, v57, v20, 0x5040100
	v_perm_b32 v18, v58, v15, 0x5040100
	v_add_lshl_u32 v10, v21, v10, 2
	v_pack_b32_f16 v9, v11, v9
	v_pack_b32_f16 v8, v8, v22
	v_perm_b32 v11, v59, v19, 0x5040100
	ds_store_2addr_b32 v10, v9, v8 offset1:13
	ds_store_2addr_b32 v10, v11, v17 offset0:26 offset1:39
	ds_store_b32 v10, v18 offset:208
.LBB0_11:
	s_wait_alu 0xfffe
	s_or_b32 exec_lo, exec_lo, s1
	v_mad_co_u64_u32 v[17:18], null, v32, 24, s[2:3]
	global_wb scope:SCOPE_SE
	s_wait_dscnt 0x0
	s_barrier_signal -1
	s_barrier_wait -1
	global_inv scope:SCOPE_SE
	v_add_nc_u32_e32 v23, 0x200, v35
	v_add_nc_u32_e32 v25, 0x400, v35
	s_clause 0x1
	global_load_b128 v[8:11], v[17:18], off offset:208
	global_load_b64 v[17:18], v[17:18], off offset:224
	ds_load_b32 v29, v35
	ds_load_2addr_b32 v[21:22], v35 offset0:65 offset1:130
	ds_load_2addr_b32 v[23:24], v23 offset0:67 offset1:132
	ds_load_2addr_b32 v[25:26], v25 offset0:69 offset1:134
	v_lshl_add_u32 v34, v32, 2, v33
	s_delay_alu instid0(VALU_DEP_1)
	v_add_nc_u32_e32 v27, 0x200, v34
	v_add_nc_u32_e32 v28, 0x400, v34
	s_wait_dscnt 0x2
	v_lshrrev_b32_e32 v60, 16, v21
	v_lshrrev_b32_e32 v61, 16, v22
	s_wait_dscnt 0x0
	v_lshrrev_b32_e32 v64, 16, v25
	v_lshrrev_b32_e32 v65, 16, v26
	;; [unrolled: 1-line block ×5, first 2 shown]
	s_wait_loadcnt 0x1
	v_lshrrev_b32_e32 v56, 16, v8
	v_lshrrev_b32_e32 v55, 16, v9
	s_wait_loadcnt 0x0
	v_lshrrev_b32_e32 v50, 16, v17
	v_lshrrev_b32_e32 v54, 16, v18
	;; [unrolled: 1-line block ×4, first 2 shown]
	v_mul_f16_e32 v66, v60, v56
	v_mul_f16_e32 v67, v21, v56
	;; [unrolled: 1-line block ×12, first 2 shown]
	v_fma_f16 v21, v21, v8, -v66
	v_fmac_f16_e32 v67, v60, v8
	v_fma_f16 v22, v22, v9, -v68
	v_fmac_f16_e32 v69, v61, v9
	;; [unrolled: 2-line block ×6, first 2 shown]
	v_add_f16_e32 v60, v21, v26
	v_add_f16_e32 v61, v67, v77
	;; [unrolled: 1-line block ×4, first 2 shown]
	v_sub_f16_e32 v21, v21, v26
	v_sub_f16_e32 v26, v67, v77
	;; [unrolled: 1-line block ×4, first 2 shown]
	v_add_f16_e32 v64, v23, v24
	v_add_f16_e32 v65, v71, v73
	v_sub_f16_e32 v23, v24, v23
	v_sub_f16_e32 v24, v73, v71
	v_add_f16_e32 v66, v62, v60
	v_add_f16_e32 v67, v63, v61
	v_sub_f16_e32 v68, v62, v60
	v_sub_f16_e32 v69, v63, v61
	;; [unrolled: 1-line block ×6, first 2 shown]
	v_add_f16_e32 v70, v23, v22
	v_add_f16_e32 v71, v24, v25
	v_sub_f16_e32 v72, v23, v22
	v_sub_f16_e32 v73, v24, v25
	;; [unrolled: 1-line block ×4, first 2 shown]
	v_add_f16_e32 v64, v64, v66
	v_add_f16_e32 v65, v65, v67
	v_sub_f16_e32 v23, v21, v23
	v_sub_f16_e32 v24, v26, v24
	v_add_f16_e32 v21, v70, v21
	v_add_f16_e32 v26, v71, v26
	v_mul_f16_e32 v66, 0x3a52, v60
	v_mul_f16_e32 v67, 0x3a52, v61
	;; [unrolled: 1-line block ×8, first 2 shown]
	v_add_f16_e32 v60, v29, v64
	v_add_f16_e32 v61, v30, v65
	v_fmamk_f16 v29, v62, 0x2b26, v66
	v_fmamk_f16 v30, v63, 0x2b26, v67
	v_fma_f16 v62, v68, 0x39e0, -v70
	v_fma_f16 v63, v69, 0x39e0, -v71
	;; [unrolled: 1-line block ×4, first 2 shown]
	v_fmamk_f16 v68, v23, 0x3574, v72
	v_fmamk_f16 v69, v24, 0x3574, v73
	v_fma_f16 v70, v22, 0x3b00, -v72
	v_fma_f16 v25, v25, 0x3b00, -v73
	;; [unrolled: 1-line block ×4, first 2 shown]
	v_fmamk_f16 v22, v64, 0xbcab, v60
	v_fmamk_f16 v23, v65, 0xbcab, v61
	v_fmac_f16_e32 v68, 0x370e, v21
	v_fmac_f16_e32 v69, 0x370e, v26
	;; [unrolled: 1-line block ×5, first 2 shown]
	v_add_f16_e32 v26, v29, v22
	v_add_f16_e32 v29, v30, v23
	;; [unrolled: 1-line block ×5, first 2 shown]
	v_fmac_f16_e32 v70, 0x370e, v21
	v_add_f16_e32 v63, v63, v23
	v_add_f16_e32 v21, v69, v26
	v_sub_f16_e32 v67, v29, v68
	v_add_f16_e32 v22, v72, v30
	v_sub_f16_e32 v66, v62, v71
	v_sub_f16_e32 v23, v24, v25
	v_add_f16_e32 v65, v70, v63
	v_add_f16_e32 v24, v25, v24
	v_sub_f16_e32 v64, v63, v70
	v_sub_f16_e32 v25, v30, v72
	v_add_f16_e32 v63, v71, v62
	v_sub_f16_e32 v26, v26, v69
	v_add_f16_e32 v62, v68, v29
	v_pack_b32_f16 v73, v60, v61
	v_pack_b32_f16 v29, v21, v67
	;; [unrolled: 1-line block ×7, first 2 shown]
	ds_store_b32 v34, v73
	ds_store_2addr_b32 v34, v29, v30 offset0:65 offset1:130
	ds_store_2addr_b32 v27, v68, v69 offset0:67 offset1:132
	;; [unrolled: 1-line block ×3, first 2 shown]
	global_wb scope:SCOPE_SE
	s_wait_dscnt 0x0
	s_barrier_signal -1
	s_barrier_wait -1
	global_inv scope:SCOPE_SE
	s_and_saveexec_b32 s1, vcc_lo
	s_cbranch_execz .LBB0_13
; %bb.12:
	global_load_b32 v29, v31, s[20:21] offset:1820
	s_add_nc_u64 s[2:3], s[20:21], 0x71c
	s_clause 0xb
	global_load_b32 v78, v31, s[2:3] offset:140
	global_load_b32 v79, v31, s[2:3] offset:280
	;; [unrolled: 1-line block ×12, first 2 shown]
	ds_load_b32 v30, v34
	s_wait_dscnt 0x0
	v_lshrrev_b32_e32 v68, 16, v30
	s_wait_loadcnt 0xb
	v_lshrrev_b32_e32 v90, 16, v78
	s_wait_loadcnt 0xa
	;; [unrolled: 2-line block ×8, first 2 shown]
	v_lshrrev_b32_e32 v97, 16, v85
	v_lshrrev_b32_e32 v69, 16, v29
	s_wait_loadcnt 0x3
	v_lshrrev_b32_e32 v98, 16, v86
	s_wait_loadcnt 0x2
	;; [unrolled: 2-line block ×4, first 2 shown]
	v_lshrrev_b32_e32 v101, 16, v89
	v_mul_f16_e32 v70, v68, v69
	v_mul_f16_e32 v69, v30, v69
	s_delay_alu instid0(VALU_DEP_2) | instskip(NEXT) | instid1(VALU_DEP_2)
	v_fma_f16 v30, v30, v29, -v70
	v_fmac_f16_e32 v69, v68, v29
	s_delay_alu instid0(VALU_DEP_1)
	v_pack_b32_f16 v29, v30, v69
	ds_store_b32 v34, v29
	ds_load_2addr_b32 v[29:30], v34 offset0:35 offset1:70
	ds_load_2addr_b32 v[68:69], v34 offset0:105 offset1:140
	;; [unrolled: 1-line block ×6, first 2 shown]
	s_wait_dscnt 0x5
	v_lshrrev_b32_e32 v102, 16, v29
	v_lshrrev_b32_e32 v104, 16, v30
	s_wait_dscnt 0x4
	v_lshrrev_b32_e32 v106, 16, v68
	v_lshrrev_b32_e32 v108, 16, v69
	;; [unrolled: 3-line block ×5, first 2 shown]
	v_mul_f16_e32 v103, v29, v90
	v_mul_f16_e32 v105, v30, v91
	s_wait_dscnt 0x0
	v_lshrrev_b32_e32 v122, 16, v76
	v_lshrrev_b32_e32 v124, 16, v77
	v_mul_f16_e32 v90, v102, v90
	v_mul_f16_e32 v91, v104, v91
	;; [unrolled: 1-line block ×20, first 2 shown]
	v_fmac_f16_e32 v103, v102, v78
	v_fmac_f16_e32 v105, v104, v79
	v_mul_f16_e32 v100, v122, v100
	v_mul_f16_e32 v101, v124, v101
	v_fma_f16 v29, v29, v78, -v90
	v_fma_f16 v30, v30, v79, -v91
	v_fmac_f16_e32 v107, v106, v80
	v_fmac_f16_e32 v109, v108, v81
	v_fma_f16 v68, v68, v80, -v92
	v_fma_f16 v69, v69, v81, -v93
	v_fmac_f16_e32 v111, v110, v82
	v_fmac_f16_e32 v113, v112, v83
	;; [unrolled: 4-line block ×5, first 2 shown]
	v_fma_f16 v76, v76, v88, -v100
	v_fma_f16 v77, v77, v89, -v101
	v_pack_b32_f16 v29, v29, v103
	v_pack_b32_f16 v30, v30, v105
	;; [unrolled: 1-line block ×12, first 2 shown]
	ds_store_2addr_b32 v34, v29, v30 offset0:35 offset1:70
	ds_store_2addr_b32 v34, v68, v69 offset0:105 offset1:140
	ds_store_2addr_b32 v34, v70, v71 offset0:175 offset1:210
	ds_store_2addr_b32 v27, v72, v73 offset0:117 offset1:152
	ds_store_2addr_b32 v28, v74, v75 offset0:59 offset1:94
	ds_store_2addr_b32 v28, v76, v77 offset0:129 offset1:164
.LBB0_13:
	s_wait_alu 0xfffe
	s_or_b32 exec_lo, exec_lo, s1
	global_wb scope:SCOPE_SE
	s_wait_dscnt 0x0
	s_barrier_signal -1
	s_barrier_wait -1
	global_inv scope:SCOPE_SE
	s_and_saveexec_b32 s1, vcc_lo
	s_cbranch_execz .LBB0_15
; %bb.14:
	v_add_nc_u32_e32 v13, 0x200, v34
	v_add_nc_u32_e32 v14, 0x400, v34
	ds_load_b32 v60, v34
	ds_load_2addr_b32 v[21:22], v34 offset0:35 offset1:70
	ds_load_2addr_b32 v[23:24], v34 offset0:105 offset1:140
	;; [unrolled: 1-line block ×6, first 2 shown]
	s_wait_dscnt 0x6
	v_lshrrev_b32_e32 v61, 16, v60
	s_wait_dscnt 0x5
	v_lshrrev_b32_e32 v67, 16, v21
	v_lshrrev_b32_e32 v66, 16, v22
	s_wait_dscnt 0x4
	v_lshrrev_b32_e32 v65, 16, v23
	;; [unrolled: 3-line block ×6, first 2 shown]
	v_lshrrev_b32_e32 v38, 16, v14
.LBB0_15:
	s_wait_alu 0xfffe
	s_or_b32 exec_lo, exec_lo, s1
	s_delay_alu instid0(VALU_DEP_1)
	v_sub_f16_e32 v82, v67, v38
	v_add_f16_e32 v86, v38, v67
	v_add_f16_e32 v74, v14, v21
	v_sub_f16_e32 v85, v66, v39
	v_sub_f16_e32 v75, v21, v14
	v_mul_f16_e32 v96, 0xbb7b, v82
	v_mul_f16_e32 v98, 0xb5ac, v86
	;; [unrolled: 1-line block ×3, first 2 shown]
	v_add_f16_e32 v90, v39, v66
	v_add_f16_e32 v76, v13, v22
	v_fma_f16 v29, v74, 0xb5ac, -v96
	v_mul_f16_e32 v100, 0x394e, v85
	v_mul_f16_e32 v28, 0xb9fd, v86
	v_fmamk_f16 v30, v75, 0xbb7b, v98
	v_fmamk_f16 v68, v74, 0xb9fd, v27
	v_mul_f16_e32 v69, 0xb3a8, v82
	v_add_f16_e32 v29, v60, v29
	v_fma_f16 v27, v74, 0xb9fd, -v27
	v_sub_f16_e32 v77, v22, v13
	v_mul_f16_e32 v101, 0xb9fd, v90
	v_mul_f16_e32 v78, 0x3bf1, v85
	v_fma_f16 v79, v76, 0xb9fd, -v100
	v_mul_f16_e32 v70, 0xbbc4, v86
	v_add_f16_e32 v30, v61, v30
	v_add_f16_e32 v68, v60, v68
	v_fmamk_f16 v71, v75, 0x394e, v28
	v_fmamk_f16 v72, v74, 0xbbc4, v69
	v_add_f16_e32 v27, v60, v27
	v_fmamk_f16 v80, v77, 0x394e, v101
	v_fmamk_f16 v81, v76, 0x2fb7, v78
	v_mul_f16_e32 v83, 0x2fb7, v90
	v_add_f16_e32 v29, v79, v29
	v_mul_f16_e32 v79, 0x3770, v85
	v_fma_f16 v78, v76, 0x2fb7, -v78
	v_sub_f16_e32 v89, v65, v40
	v_fmamk_f16 v73, v75, 0x33a8, v70
	v_add_f16_e32 v71, v61, v71
	v_add_f16_e32 v72, v60, v72
	v_add_f16_e32 v30, v80, v30
	v_add_f16_e32 v68, v81, v68
	v_fmamk_f16 v80, v77, 0xbbf1, v83
	v_mul_f16_e32 v81, 0x3b15, v90
	v_fmamk_f16 v84, v76, 0x3b15, v79
	v_add_f16_e32 v27, v78, v27
	v_add_f16_e32 v78, v16, v23
	v_mul_f16_e32 v102, 0x3770, v89
	v_fmac_f16_e32 v28, 0xb94e, v75
	v_add_f16_e32 v73, v61, v73
	v_fma_f16 v69, v74, 0xbbc4, -v69
	v_add_f16_e32 v71, v80, v71
	v_fmamk_f16 v80, v77, 0xb770, v81
	v_add_f16_e32 v72, v84, v72
	v_add_f16_e32 v92, v40, v65
	v_fma_f16 v84, v78, 0x3b15, -v102
	v_add_f16_e32 v28, v61, v28
	v_fmac_f16_e32 v70, 0xb3a8, v75
	v_add_f16_e32 v69, v60, v69
	v_fmac_f16_e32 v83, 0x3bf1, v77
	v_add_f16_e32 v73, v80, v73
	v_fma_f16 v80, v76, 0x3b15, -v79
	v_sub_f16_e32 v79, v23, v16
	v_mul_f16_e32 v103, 0x3b15, v92
	v_add_f16_e32 v29, v84, v29
	v_mul_f16_e32 v84, 0xb9fd, v92
	v_add_f16_e32 v70, v61, v70
	v_add_f16_e32 v28, v83, v28
	v_mul_f16_e32 v83, 0xba95, v89
	v_fmac_f16_e32 v81, 0x3770, v77
	v_add_f16_e32 v69, v80, v69
	v_fmamk_f16 v80, v79, 0x3770, v103
	v_fmamk_f16 v91, v79, 0x394e, v84
	;; [unrolled: 1-line block ×3, first 2 shown]
	v_add_f16_e32 v70, v81, v70
	v_mul_f16_e32 v81, 0x388b, v92
	v_add_f16_e32 v30, v80, v30
	v_mul_f16_e32 v80, 0xb94e, v89
	v_fma_f16 v83, v78, 0x388b, -v83
	v_add_f16_e32 v73, v91, v73
	v_sub_f16_e32 v91, v64, v58
	v_add_f16_e32 v68, v87, v68
	v_fmamk_f16 v87, v79, 0x3a95, v81
	v_fmamk_f16 v88, v78, 0xb9fd, v80
	v_add_f16_e32 v27, v83, v27
	v_fma_f16 v83, v78, 0xb9fd, -v80
	v_add_f16_e32 v80, v15, v24
	v_mul_f16_e32 v104, 0xbbf1, v91
	v_fmac_f16_e32 v81, 0xba95, v79
	v_add_f16_e32 v71, v87, v71
	v_add_f16_e32 v93, v58, v64
	v_mul_f16_e32 v87, 0x33a8, v91
	v_add_f16_e32 v69, v83, v69
	v_fma_f16 v83, v80, 0x2fb7, -v104
	v_add_f16_e32 v28, v81, v28
	v_sub_f16_e32 v81, v24, v15
	v_mul_f16_e32 v105, 0x2fb7, v93
	v_fmac_f16_e32 v84, 0xb94e, v79
	v_fmamk_f16 v94, v80, 0xbbc4, v87
	v_add_f16_e32 v29, v83, v29
	v_mul_f16_e32 v83, 0x3a95, v91
	v_add_f16_e32 v72, v88, v72
	v_fmamk_f16 v88, v81, 0xbbf1, v105
	v_add_f16_e32 v70, v84, v70
	v_mul_f16_e32 v84, 0xbbc4, v93
	v_add_f16_e32 v68, v94, v68
	v_fmamk_f16 v94, v80, 0x388b, v83
	v_add_f16_e32 v30, v88, v30
	v_mul_f16_e32 v97, 0x388b, v93
	v_fmamk_f16 v88, v81, 0xb3a8, v84
	v_fma_f16 v87, v80, 0xbbc4, -v87
	v_fmac_f16_e32 v84, 0x33a8, v81
	v_add_f16_e32 v72, v94, v72
	v_sub_f16_e32 v94, v63, v57
	v_add_f16_e32 v95, v57, v63
	v_add_f16_e32 v71, v88, v71
	v_fmamk_f16 v88, v81, 0xba95, v97
	v_add_f16_e32 v27, v87, v27
	v_add_f16_e32 v28, v84, v28
	v_fma_f16 v87, v80, 0x388b, -v83
	v_add_f16_e32 v83, v20, v25
	v_mul_f16_e32 v106, 0x33a8, v94
	v_sub_f16_e32 v84, v25, v20
	v_mul_f16_e32 v107, 0xbbc4, v95
	v_fmac_f16_e32 v97, 0x3a95, v81
	v_add_f16_e32 v73, v88, v73
	v_mul_f16_e32 v88, 0x3770, v94
	v_fma_f16 v99, v83, 0xbbc4, -v106
	v_add_f16_e32 v69, v87, v69
	v_fmamk_f16 v87, v84, 0x33a8, v107
	v_add_f16_e32 v70, v97, v70
	v_mul_f16_e32 v97, 0x3b15, v95
	v_fmamk_f16 v108, v83, 0x3b15, v88
	v_add_f16_e32 v29, v99, v29
	v_add_f16_e32 v30, v87, v30
	v_mul_f16_e32 v87, 0xbb7b, v94
	v_mul_f16_e32 v110, 0xb5ac, v95
	v_fmamk_f16 v99, v84, 0xb770, v97
	v_fmac_f16_e32 v97, 0x3770, v84
	v_add_f16_e32 v68, v108, v68
	v_fma_f16 v88, v83, 0x3b15, -v88
	v_fmamk_f16 v108, v83, 0xb5ac, v87
	v_fmamk_f16 v109, v84, 0x3b7b, v110
	v_add_f16_e32 v71, v99, v71
	v_add_f16_e32 v111, v97, v28
	v_sub_f16_e32 v97, v62, v59
	v_add_f16_e32 v99, v59, v62
	v_fma_f16 v28, v83, 0xb5ac, -v87
	v_add_f16_e32 v27, v88, v27
	v_add_f16_e32 v72, v108, v72
	;; [unrolled: 1-line block ×4, first 2 shown]
	v_sub_f16_e32 v88, v26, v19
	v_mul_f16_e32 v108, 0x3a95, v97
	v_mul_f16_e32 v109, 0x388b, v99
	v_add_f16_e32 v112, v28, v69
	v_mul_f16_e32 v69, 0xbb7b, v97
	v_fmac_f16_e32 v110, 0xbb7b, v84
	v_fma_f16 v28, v87, 0x388b, -v108
	v_fmamk_f16 v113, v88, 0x3a95, v109
	v_mul_f16_e32 v114, 0xb5ac, v99
	v_fmamk_f16 v115, v87, 0xb5ac, v69
	v_add_f16_e32 v110, v110, v70
	v_add_f16_e32 v28, v28, v29
	;; [unrolled: 1-line block ×3, first 2 shown]
	v_fmamk_f16 v29, v88, 0x3b7b, v114
	v_fma_f16 v30, v87, 0xb5ac, -v69
	v_add_f16_e32 v68, v115, v68
	v_mul_f16_e32 v113, 0x3bf1, v97
	v_mul_f16_e32 v115, 0x2fb7, v99
	v_add_f16_e32 v69, v29, v71
	v_add_f16_e32 v27, v30, v27
	v_fmac_f16_e32 v114, 0xbb7b, v88
	v_fmamk_f16 v29, v87, 0x2fb7, v113
	v_fmamk_f16 v30, v88, 0xbbf1, v115
	v_fma_f16 v113, v87, 0x2fb7, -v113
	v_fmac_f16_e32 v115, 0x3bf1, v88
	v_add_f16_e32 v71, v114, v111
	v_add_f16_e32 v29, v29, v72
	;; [unrolled: 1-line block ×5, first 2 shown]
	global_wb scope:SCOPE_SE
	s_barrier_signal -1
	s_barrier_wait -1
	global_inv scope:SCOPE_SE
	s_and_saveexec_b32 s1, vcc_lo
	s_cbranch_execz .LBB0_17
; %bb.16:
	v_mul_f16_e32 v110, 0xbb7b, v75
	v_mul_f16_e32 v113, 0x394e, v77
	;; [unrolled: 1-line block ×5, first 2 shown]
	v_sub_f16_e32 v98, v98, v110
	v_mul_f16_e32 v110, 0x3770, v79
	v_sub_f16_e32 v101, v101, v113
	v_add_f16_e32 v96, v111, v96
	v_mul_f16_e32 v114, 0x3b15, v78
	v_add_f16_e32 v98, v61, v98
	v_sub_f16_e32 v103, v103, v110
	v_mul_f16_e32 v117, 0x33a8, v84
	v_sub_f16_e32 v105, v105, v116
	v_add_f16_e32 v100, v112, v100
	v_add_f16_e32 v98, v101, v98
	;; [unrolled: 1-line block ×3, first 2 shown]
	v_mul_f16_e32 v115, 0x2fb7, v80
	v_sub_f16_e32 v107, v107, v117
	v_add_f16_e32 v102, v114, v102
	v_add_f16_e32 v98, v103, v98
	v_mul_f16_e32 v103, 0x3a95, v88
	v_add_f16_e32 v96, v100, v96
	v_mul_f16_e32 v100, 0x2fb7, v86
	v_mul_f16_e32 v113, 0xbbc4, v83
	v_add_f16_e32 v98, v105, v98
	v_sub_f16_e32 v103, v109, v103
	v_add_f16_e32 v104, v115, v104
	v_add_f16_e32 v96, v102, v96
	v_fmamk_f16 v102, v75, 0x3bf1, v100
	v_add_f16_e32 v98, v107, v98
	v_mul_f16_e32 v105, 0xbbc4, v90
	v_mul_f16_e32 v101, 0x388b, v87
	v_add_f16_e32 v106, v113, v106
	v_add_f16_e32 v96, v104, v96
	;; [unrolled: 1-line block ×4, first 2 shown]
	v_fmamk_f16 v103, v77, 0x33a8, v105
	v_mul_f16_e32 v104, 0xb5ac, v92
	v_add_f16_e32 v96, v106, v96
	v_add_f16_e32 v101, v101, v108
	v_mul_f16_e32 v106, 0xbbf1, v82
	v_add_f16_e32 v102, v103, v102
	v_fmamk_f16 v103, v79, 0xbb7b, v104
	v_mul_f16_e32 v107, 0x3b15, v93
	v_add_f16_e32 v96, v101, v96
	v_fmamk_f16 v101, v74, 0x2fb7, v106
	;; [unrolled: 3-line block ×19, first 2 shown]
	v_add_f16_e32 v21, v21, v60
	v_add_f16_e32 v110, v124, v110
	v_fmamk_f16 v124, v80, 0xb9fd, v127
	v_mul_f16_e64 v130, 0x3770, v97
	v_add_f16_e32 v103, v118, v103
	v_mul_f16_e32 v118, 0x3bf1, v94
	v_add_f16_e32 v21, v22, v21
	v_add_f16_e32 v110, v124, v110
	v_fma_f16 v22, 0x3b15, v87, v130
	v_mul_f16_e32 v82, 0xb770, v82
	v_fma_f16 v129, 0x2fb7, v83, v118
	v_add_f16_e32 v21, v23, v21
	v_add_f16_e32 v23, v67, v61
	v_mul_f16_e32 v86, 0x3b15, v86
	v_mul_f16_e32 v90, 0x388b, v90
	v_add_f16_e64 v110, v129, v110
	v_add_f16_e32 v21, v24, v21
	v_add_f16_e32 v23, v66, v23
	v_mul_f16_e32 v24, 0xba95, v85
	v_fma_f16 v128, 0x3770, v75, v86
	v_add_f16_e32 v22, v22, v110
	v_fmamk_f16 v110, v74, 0x3b15, v82
	v_add_f16_e32 v21, v25, v21
	v_add_f16_e32 v23, v65, v23
	v_fmamk_f16 v25, v76, 0x388b, v24
	v_mul_f16_e32 v65, 0xbbf1, v89
	v_add_f16_e32 v85, v60, v110
	v_add_f16_e32 v21, v26, v21
	;; [unrolled: 1-line block ×3, first 2 shown]
	v_mul_f16_e32 v64, 0xbb7b, v91
	v_fmamk_f16 v26, v78, 0x2fb7, v65
	v_add_f16_e32 v25, v25, v85
	v_add_f16_e32 v19, v19, v21
	;; [unrolled: 1-line block ×3, first 2 shown]
	v_add_f16_e64 v124, v61, v128
	v_fma_f16 v128, 0x3a95, v77, v90
	v_add_f16_e32 v25, v26, v25
	v_fmamk_f16 v26, v80, 0xb5ac, v64
	v_add_f16_e32 v19, v20, v19
	v_add_f16_e32 v20, v62, v21
	v_mul_f16_e32 v21, 0xb94e, v94
	v_mul_f16_e32 v92, 0x2fb7, v92
	v_add_f16_e32 v25, v26, v25
	v_add_f16_e32 v15, v15, v19
	;; [unrolled: 1-line block ×3, first 2 shown]
	v_fmamk_f16 v20, v83, 0xb9fd, v21
	v_mul_f16_e32 v26, 0xb3a8, v97
	v_fmac_f16_e32 v100, 0xbbf1, v75
	v_add_f16_e32 v15, v16, v15
	v_add_f16_e32 v16, v57, v19
	;; [unrolled: 1-line block ×3, first 2 shown]
	v_fmamk_f16 v20, v87, 0xbbc4, v26
	v_fmac_f16_e32 v114, 0xba95, v75
	v_add_f16_e32 v13, v13, v15
	v_add_f16_e32 v15, v58, v16
	v_fmac_f16_e32 v86, 0xb770, v75
	v_add_f16_e32 v16, v20, v19
	v_fma_f16 v19, v74, 0x2fb7, -v106
	v_fma_f16 v20, v76, 0xbbc4, -v108
	v_add_f16_e32 v13, v14, v13
	v_add_f16_e32 v14, v40, v15
	v_add_f16_e64 v124, v128, v124
	v_add_f16_e32 v19, v60, v19
	v_fma_f16 v128, 0x3bf1, v79, v92
	v_mul_f16_e32 v93, 0xb5ac, v93
	v_add_f16_e32 v14, v39, v14
	v_add_f16_e32 v15, v61, v100
	;; [unrolled: 1-line block ×3, first 2 shown]
	v_fma_f16 v20, v78, 0xb5ac, -v111
	v_fmac_f16_e32 v105, 0xb3a8, v77
	v_add_f16_e32 v14, v38, v14
	v_fma_f16 v38, v74, 0x3b15, -v82
	v_add_f16_e32 v25, v61, v114
	v_add_f16_e32 v19, v20, v19
	v_fma_f16 v20, v80, 0x3b15, -v113
	v_fmac_f16_e32 v116, 0xbb7b, v77
	v_fma_f16 v39, v76, 0xb5ac, -v122
	v_add_f16_e32 v40, v61, v86
	v_fmac_f16_e32 v90, 0xba95, v77
	v_add_f16_e32 v19, v20, v19
	v_fma_f16 v20, v83, 0x388b, -v115
	v_add_f16_e32 v38, v60, v38
	v_fma_f16 v24, v76, 0x388b, -v24
	v_add_f16_e64 v124, v128, v124
	v_fma_f16 v128, 0x3b7b, v81, v93
	v_add_f16_e32 v19, v20, v19
	v_fma_f16 v20, v87, 0xb9fd, -v117
	v_mul_f16_e32 v66, 0xb9fd, v95
	v_add_f16_e32 v15, v105, v15
	v_fmac_f16_e32 v104, 0x3b7b, v79
	v_add_f16_e32 v25, v116, v25
	v_add_f16_e32 v19, v20, v19
	v_fma_f16 v20, v74, 0x388b, -v120
	v_fmac_f16_e32 v119, 0xb3a8, v79
	v_add_f16_e32 v40, v90, v40
	v_fmac_f16_e32 v92, 0xbbf1, v79
	v_add_f16_e32 v24, v24, v38
	v_add_f16_e32 v20, v60, v20
	v_fma_f16 v38, v78, 0x2fb7, -v65
	v_add_f16_e64 v67, v128, v124
	v_fmamk_f16 v89, v84, 0x394e, v66
	v_mul_f16_e32 v62, 0xbbc4, v99
	v_add_f16_e32 v20, v39, v20
	v_fma_f16 v39, v78, 0xbbc4, -v125
	v_add_f16_e32 v15, v104, v15
	v_fmac_f16_e32 v107, 0x3770, v81
	v_add_f16_e32 v25, v119, v25
	v_fmac_f16_e32 v121, 0x394e, v81
	v_add_f16_e32 v20, v39, v20
	v_fma_f16 v39, v80, 0xb9fd, -v127
	v_add_f16_e32 v40, v92, v40
	v_fmac_f16_e32 v93, 0xbb7b, v81
	v_add_f16_e32 v24, v38, v24
	v_fma_f16 v38, v80, 0xb5ac, -v64
	v_add_f16_e32 v23, v89, v67
	v_fmamk_f16 v59, v88, 0x33a8, v62
	v_add_f16_e32 v15, v107, v15
	v_fmac_f16_e32 v109, 0xba95, v84
	v_add_f16_e32 v25, v121, v25
	v_fmac_f16_e32 v123, 0x3bf1, v84
	v_add_f16_e32 v20, v39, v20
	v_fma_f16 v39, v83, 0x2fb7, -v118
	v_add_f16_e32 v40, v93, v40
	v_fmac_f16_e32 v66, 0xb94e, v84
	v_add_f16_e32 v24, v38, v24
	v_fma_f16 v21, v83, 0xb9fd, -v21
	v_add_f16_e32 v23, v59, v23
	v_add_f16_e32 v15, v109, v15
	v_fmac_f16_e32 v112, 0xb94e, v88
	v_add_f16_e32 v25, v123, v25
	v_fmac_f16_e32 v126, 0x3770, v88
	v_add_f16_e32 v20, v39, v20
	v_fma_f16 v38, v87, 0x3b15, -v130
	v_add_f16_e32 v39, v66, v40
	v_fmac_f16_e32 v62, 0xb3a8, v88
	v_add_f16_e32 v21, v21, v24
	v_fma_f16 v24, v87, 0xbbc4, -v26
	v_and_b32_e32 v26, 0xffff, v36
	v_add_f16_e32 v15, v112, v15
	v_add_f16_e32 v25, v126, v25
	;; [unrolled: 1-line block ×5, first 2 shown]
	v_lshl_add_u32 v24, v26, 2, v33
	v_pack_b32_f16 v16, v16, v23
	v_pack_b32_f16 v13, v13, v14
	;; [unrolled: 1-line block ×5, first 2 shown]
	v_perm_b32 v26, v69, v68, 0x5040100
	v_perm_b32 v38, v73, v30, 0x5040100
	;; [unrolled: 1-line block ×5, first 2 shown]
	v_pack_b32_f16 v20, v20, v25
	v_pack_b32_f16 v15, v19, v15
	v_pack_b32_f16 v19, v21, v36
	ds_store_2addr_b32 v24, v13, v16 offset1:1
	ds_store_2addr_b32 v24, v22, v14 offset0:2 offset1:3
	ds_store_2addr_b32 v24, v23, v26 offset0:4 offset1:5
	ds_store_2addr_b32 v24, v39, v38 offset0:6 offset1:7
	ds_store_2addr_b32 v24, v57, v40 offset0:8 offset1:9
	ds_store_2addr_b32 v24, v15, v20 offset0:10 offset1:11
	ds_store_b32 v24, v19 offset:48
.LBB0_17:
	s_wait_alu 0xfffe
	s_or_b32 exec_lo, exec_lo, s1
	v_add_nc_u32_e32 v15, 0x200, v35
	global_wb scope:SCOPE_SE
	s_wait_dscnt 0x0
	s_barrier_signal -1
	s_barrier_wait -1
	global_inv scope:SCOPE_SE
	ds_load_2addr_b32 v[13:14], v35 offset1:91
	ds_load_2addr_b32 v[15:16], v15 offset0:54 offset1:145
	ds_load_b32 v19, v35 offset:1456
	s_and_saveexec_b32 s1, s0
	s_cbranch_execz .LBB0_19
; %bb.18:
	v_add_nc_u32_e32 v20, 0x400, v35
	ds_load_b32 v68, v35 offset:260
	ds_load_2addr_b32 v[29:30], v35 offset0:156 offset1:247
	ds_load_2addr_b32 v[27:28], v20 offset0:82 offset1:173
	s_wait_dscnt 0x2
	v_lshrrev_b32_e32 v69, 16, v68
	s_wait_dscnt 0x1
	v_lshrrev_b32_e32 v72, 16, v29
	v_lshrrev_b32_e32 v73, 16, v30
	s_wait_dscnt 0x0
	v_lshrrev_b32_e32 v71, 16, v27
	v_lshrrev_b32_e32 v70, 16, v28
.LBB0_19:
	s_wait_alu 0xfffe
	s_or_b32 exec_lo, exec_lo, s1
	s_wait_dscnt 0x1
	v_lshrrev_b32_e32 v20, 16, v15
	v_lshrrev_b32_e32 v21, 16, v16
	;; [unrolled: 1-line block ×3, first 2 shown]
	s_wait_dscnt 0x0
	v_lshrrev_b32_e32 v23, 16, v19
	v_mul_f16_e32 v26, v49, v14
	v_mul_f16_e32 v24, v51, v20
	v_mul_f16_e32 v25, v48, v21
	v_mul_f16_e32 v36, v51, v15
	v_mul_f16_e32 v38, v49, v22
	v_fma_f16 v22, v4, v22, -v26
	v_fmac_f16_e32 v24, v5, v15
	v_fmac_f16_e32 v25, v6, v16
	v_mul_f16_e32 v15, v47, v19
	v_mul_f16_e32 v16, v48, v16
	v_fmac_f16_e32 v38, v4, v14
	v_fma_f16 v5, v5, v20, -v36
	v_add_f16_e32 v4, v24, v25
	v_fma_f16 v14, v7, v23, -v15
	v_mul_f16_e32 v15, v47, v23
	v_add_f16_e32 v20, v13, v38
	v_fma_f16 v6, v6, v21, -v16
	v_fma_f16 v4, -0.5, v4, v13
	v_sub_f16_e32 v23, v22, v14
	v_fmac_f16_e32 v15, v7, v19
	v_add_f16_e32 v7, v20, v24
	v_sub_f16_e32 v20, v5, v6
	v_sub_f16_e32 v21, v38, v24
	v_fmamk_f16 v19, v23, 0xbb9c, v4
	v_sub_f16_e32 v26, v15, v25
	v_fmac_f16_e32 v4, 0x3b9c, v23
	v_add_f16_e32 v36, v38, v15
	v_lshrrev_b32_e32 v16, 16, v13
	v_fmac_f16_e32 v19, 0xb8b4, v20
	v_add_f16_e32 v21, v21, v26
	v_fmac_f16_e32 v4, 0x38b4, v20
	v_fmac_f16_e32 v13, -0.5, v36
	v_add_f16_e32 v7, v7, v25
	v_add_f16_e32 v26, v5, v6
	v_fmac_f16_e32 v19, 0x34f2, v21
	v_fmac_f16_e32 v4, 0x34f2, v21
	v_fmamk_f16 v21, v20, 0x3b9c, v13
	v_sub_f16_e32 v36, v24, v38
	v_sub_f16_e32 v39, v25, v15
	v_fmac_f16_e32 v13, 0xbb9c, v20
	v_add_f16_e32 v7, v7, v15
	v_add_f16_e32 v20, v16, v22
	v_sub_f16_e32 v15, v38, v15
	v_add_f16_e32 v38, v22, v14
	v_fma_f16 v26, -0.5, v26, v16
	v_fmac_f16_e32 v21, 0xb8b4, v23
	v_add_f16_e32 v36, v36, v39
	v_fmac_f16_e32 v13, 0x38b4, v23
	v_add_f16_e32 v20, v20, v5
	v_sub_f16_e32 v24, v24, v25
	v_fmac_f16_e32 v16, -0.5, v38
	v_fmamk_f16 v23, v15, 0x3b9c, v26
	v_fmac_f16_e32 v21, 0x34f2, v36
	v_fmac_f16_e32 v13, 0x34f2, v36
	v_sub_f16_e32 v25, v22, v5
	v_sub_f16_e32 v36, v14, v6
	v_add_f16_e32 v20, v20, v6
	v_fmamk_f16 v38, v24, 0xbb9c, v16
	v_sub_f16_e32 v5, v5, v22
	v_sub_f16_e32 v6, v6, v14
	v_fmac_f16_e32 v16, 0x3b9c, v24
	v_fmac_f16_e32 v26, 0xbb9c, v15
	;; [unrolled: 1-line block ×3, first 2 shown]
	v_add_f16_e32 v22, v25, v36
	v_fmac_f16_e32 v38, 0x38b4, v15
	v_add_f16_e32 v5, v5, v6
	v_fmac_f16_e32 v16, 0xb8b4, v15
	v_fmac_f16_e32 v26, 0xb8b4, v24
	v_add_f16_e32 v6, v20, v14
	v_fmac_f16_e32 v23, 0x34f2, v22
	v_fmac_f16_e32 v38, 0x34f2, v5
	;; [unrolled: 1-line block ×4, first 2 shown]
	v_pack_b32_f16 v5, v7, v6
	v_pack_b32_f16 v6, v19, v23
	;; [unrolled: 1-line block ×5, first 2 shown]
	global_wb scope:SCOPE_SE
	s_barrier_signal -1
	s_barrier_wait -1
	global_inv scope:SCOPE_SE
	ds_store_2addr_b32 v46, v5, v6 offset1:13
	ds_store_2addr_b32 v46, v7, v13 offset0:26 offset1:39
	ds_store_b32 v46, v4 offset:208
	s_and_saveexec_b32 s1, s0
	s_cbranch_execz .LBB0_21
; %bb.20:
	v_mul_f16_e32 v4, v42, v29
	v_mul_f16_e32 v5, v45, v30
	;; [unrolled: 1-line block ×8, first 2 shown]
	v_fma_f16 v4, v0, v72, -v4
	v_fma_f16 v5, v1, v73, -v5
	;; [unrolled: 1-line block ×3, first 2 shown]
	v_fmac_f16_e32 v13, v1, v30
	v_fmac_f16_e32 v14, v2, v27
	;; [unrolled: 1-line block ×4, first 2 shown]
	v_fma_f16 v1, v3, v70, -v6
	v_sub_f16_e32 v3, v4, v5
	v_add_f16_e32 v0, v5, v7
	v_sub_f16_e32 v23, v15, v13
	v_sub_f16_e32 v24, v16, v14
	;; [unrolled: 1-line block ×4, first 2 shown]
	v_fma_f16 v0, -0.5, v0, v69
	v_sub_f16_e32 v21, v13, v14
	v_add_f16_e32 v23, v24, v23
	v_add_f16_e32 v3, v19, v3
	;; [unrolled: 1-line block ×4, first 2 shown]
	v_sub_f16_e32 v26, v5, v7
	v_sub_f16_e32 v4, v5, v4
	v_add_f16_e32 v2, v13, v14
	v_add_f16_e32 v19, v5, v19
	v_fmac_f16_e32 v69, -0.5, v24
	v_sub_f16_e32 v5, v7, v1
	v_sub_f16_e32 v6, v15, v16
	v_fma_f16 v2, -0.5, v2, v68
	v_add_f16_e32 v19, v7, v19
	v_fmamk_f16 v7, v21, 0x3b9c, v69
	v_fmac_f16_e32 v69, 0xbb9c, v21
	v_add_f16_e32 v4, v5, v4
	v_add_f16_e32 v5, v16, v15
	;; [unrolled: 1-line block ×3, first 2 shown]
	v_fmac_f16_e32 v7, 0xb8b4, v6
	v_fmac_f16_e32 v69, 0x38b4, v6
	v_fmamk_f16 v22, v6, 0x3b9c, v0
	v_fmac_f16_e32 v68, -0.5, v5
	v_fmamk_f16 v25, v20, 0xbb9c, v2
	v_add_f16_e32 v24, v13, v27
	v_fmac_f16_e32 v7, 0x34f2, v4
	v_fmac_f16_e32 v69, 0x34f2, v4
	v_sub_f16_e32 v4, v13, v15
	v_sub_f16_e32 v5, v14, v16
	v_fmamk_f16 v13, v26, 0xbb9c, v68
	v_fmac_f16_e32 v68, 0x3b9c, v26
	v_fmac_f16_e32 v0, 0xbb9c, v6
	;; [unrolled: 1-line block ×5, first 2 shown]
	v_add_f16_e32 v1, v1, v19
	v_add_f16_e32 v19, v14, v24
	v_mul_u32_u24_e32 v14, 0x41, v41
	v_add_f16_e32 v4, v5, v4
	v_fmac_f16_e32 v13, 0x38b4, v20
	v_fmac_f16_e32 v68, 0xb8b4, v20
	;; [unrolled: 1-line block ×6, first 2 shown]
	v_add_f16_e32 v6, v16, v19
	v_add_nc_u32_e32 v5, v14, v37
	v_fmac_f16_e32 v13, 0x34f2, v4
	v_fmac_f16_e32 v68, 0x34f2, v4
	;; [unrolled: 1-line block ×4, first 2 shown]
	v_lshl_add_u32 v3, v5, 2, v33
	v_pack_b32_f16 v1, v6, v1
	v_pack_b32_f16 v4, v25, v22
	;; [unrolled: 1-line block ×5, first 2 shown]
	ds_store_2addr_b32 v3, v1, v4 offset1:13
	ds_store_2addr_b32 v3, v5, v6 offset0:26 offset1:39
	ds_store_b32 v3, v0 offset:208
.LBB0_21:
	s_wait_alu 0xfffe
	s_or_b32 exec_lo, exec_lo, s1
	global_wb scope:SCOPE_SE
	s_wait_dscnt 0x0
	s_barrier_signal -1
	s_barrier_wait -1
	global_inv scope:SCOPE_SE
	v_add_nc_u32_e32 v2, 0x200, v35
	ds_load_2addr_b32 v[0:1], v35 offset0:65 offset1:130
	v_add_nc_u32_e32 v4, 0x400, v35
	ds_load_b32 v6, v35
	ds_load_2addr_b32 v[2:3], v2 offset0:67 offset1:132
	ds_load_2addr_b32 v[4:5], v4 offset0:69 offset1:134
	s_wait_dscnt 0x3
	v_lshrrev_b32_e32 v13, 16, v0
	v_lshrrev_b32_e32 v14, 16, v1
	v_mul_f16_e32 v15, v56, v0
	v_mul_f16_e32 v16, v55, v1
	s_wait_dscnt 0x1
	v_lshrrev_b32_e32 v19, 16, v2
	s_wait_dscnt 0x0
	v_lshrrev_b32_e32 v21, 16, v4
	v_lshrrev_b32_e32 v22, 16, v5
	v_mul_f16_e32 v23, v56, v13
	v_fma_f16 v13, v8, v13, -v15
	v_mul_f16_e32 v15, v55, v14
	v_fma_f16 v14, v9, v14, -v16
	v_mul_f16_e32 v16, v52, v2
	v_lshrrev_b32_e32 v20, 16, v3
	v_mul_f16_e32 v25, v50, v4
	v_mul_f16_e32 v26, v54, v5
	v_fmac_f16_e32 v23, v8, v0
	v_fmac_f16_e32 v15, v9, v1
	v_mul_f16_e32 v0, v52, v19
	v_mul_f16_e32 v8, v54, v22
	v_fma_f16 v9, v10, v19, -v16
	v_mul_f16_e32 v16, v50, v21
	v_mul_f16_e32 v24, v53, v3
	;; [unrolled: 1-line block ×3, first 2 shown]
	v_fmac_f16_e32 v0, v10, v2
	v_fmac_f16_e32 v8, v18, v5
	v_fma_f16 v2, v18, v22, -v26
	v_fmac_f16_e32 v16, v17, v4
	v_fma_f16 v4, v17, v21, -v25
	;; [unrolled: 2-line block ×3, first 2 shown]
	v_add_f16_e32 v5, v23, v8
	v_add_f16_e32 v10, v13, v2
	v_sub_f16_e32 v2, v13, v2
	v_add_f16_e32 v11, v15, v16
	v_add_f16_e32 v13, v14, v4
	v_sub_f16_e32 v15, v15, v16
	v_sub_f16_e32 v4, v14, v4
	v_add_f16_e32 v14, v0, v1
	v_add_f16_e32 v16, v9, v3
	v_sub_f16_e32 v0, v1, v0
	;; [unrolled: 4-line block ×3, first 2 shown]
	v_lshrrev_b32_e32 v7, 16, v6
	v_sub_f16_e32 v17, v11, v5
	v_sub_f16_e32 v18, v13, v10
	;; [unrolled: 1-line block ×6, first 2 shown]
	v_add_f16_e32 v19, v0, v15
	v_add_f16_e32 v20, v1, v4
	v_sub_f16_e32 v21, v0, v15
	v_sub_f16_e32 v22, v1, v4
	v_add_f16_e32 v3, v14, v3
	v_add_f16_e32 v9, v16, v9
	v_sub_f16_e32 v15, v15, v8
	v_sub_f16_e32 v4, v4, v2
	;; [unrolled: 1-line block ×4, first 2 shown]
	v_add_f16_e32 v8, v19, v8
	v_add_f16_e32 v2, v20, v2
	;; [unrolled: 1-line block ×4, first 2 shown]
	v_mul_f16_e32 v5, 0x3a52, v5
	v_mul_f16_e32 v10, 0x3a52, v10
	;; [unrolled: 1-line block ×8, first 2 shown]
	v_fmamk_f16 v3, v3, 0xbcab, v6
	v_fmamk_f16 v9, v9, 0xbcab, v7
	;; [unrolled: 1-line block ×4, first 2 shown]
	v_fma_f16 v14, v17, 0x39e0, -v14
	v_fma_f16 v16, v18, 0x39e0, -v16
	;; [unrolled: 1-line block ×4, first 2 shown]
	v_fmamk_f16 v17, v0, 0xb574, v19
	v_fmamk_f16 v18, v1, 0xb574, v20
	v_fma_f16 v0, v0, 0x3574, -v21
	v_fma_f16 v1, v1, 0x3574, -v22
	;; [unrolled: 1-line block ×4, first 2 shown]
	v_add_f16_e32 v11, v11, v3
	v_add_f16_e32 v13, v13, v9
	v_fmac_f16_e32 v17, 0xb70e, v8
	v_fmac_f16_e32 v18, 0xb70e, v2
	v_add_f16_e32 v14, v14, v3
	v_add_f16_e32 v3, v5, v3
	;; [unrolled: 1-line block ×3, first 2 shown]
	v_fmac_f16_e32 v1, 0xb70e, v2
	v_fmac_f16_e32 v0, 0xb70e, v8
	v_add_f16_e32 v16, v16, v9
	v_fmac_f16_e32 v15, 0xb70e, v8
	v_fmac_f16_e32 v4, 0xb70e, v2
	v_add_f16_e32 v2, v18, v11
	v_sub_f16_e32 v8, v13, v17
	v_add_f16_e32 v9, v1, v3
	v_sub_f16_e32 v10, v5, v0
	v_sub_f16_e32 v19, v14, v4
	v_add_f16_e32 v20, v15, v16
	v_add_f16_e32 v4, v4, v14
	v_sub_f16_e32 v14, v16, v15
	v_sub_f16_e32 v1, v3, v1
	v_add_f16_e32 v0, v0, v5
	v_sub_f16_e32 v5, v11, v18
	v_add_f16_e32 v11, v17, v13
	v_pack_b32_f16 v6, v6, v7
	v_pack_b32_f16 v7, v2, v8
	v_add_nc_u32_e32 v3, 0x200, v34
	v_add_nc_u32_e32 v2, 0x400, v34
	v_pack_b32_f16 v8, v9, v10
	v_pack_b32_f16 v9, v19, v20
	;; [unrolled: 1-line block ×5, first 2 shown]
	ds_store_b32 v34, v6
	ds_store_2addr_b32 v34, v7, v8 offset0:65 offset1:130
	ds_store_2addr_b32 v3, v9, v4 offset0:67 offset1:132
	;; [unrolled: 1-line block ×3, first 2 shown]
	global_wb scope:SCOPE_SE
	s_wait_dscnt 0x0
	s_barrier_signal -1
	s_barrier_wait -1
	global_inv scope:SCOPE_SE
	s_and_b32 exec_lo, exec_lo, vcc_lo
	s_cbranch_execz .LBB0_23
; %bb.22:
	s_clause 0x6
	global_load_b32 v0, v31, s[20:21]
	global_load_b32 v1, v31, s[20:21] offset:140
	global_load_b32 v8, v31, s[20:21] offset:280
	;; [unrolled: 1-line block ×6, first 2 shown]
	v_mad_co_u64_u32 v[13:14], null, s6, v12, 0
	ds_load_b32 v26, v34
	ds_load_2addr_b32 v[15:16], v34 offset0:35 offset1:70
	ds_load_2addr_b32 v[17:18], v34 offset0:105 offset1:140
	v_mad_co_u64_u32 v[19:20], null, s4, v32, 0
	ds_load_2addr_b32 v[21:22], v34 offset0:175 offset1:210
	s_mov_b32 s24, 0x12012012
	s_mov_b32 s25, 0x3f620120
	v_mov_b32_e32 v11, v14
	s_mul_u64 s[22:23], s[4:5], 0x8c
	global_load_b32 v4, v31, s[20:21] offset:980
	v_mov_b32_e32 v14, v20
	s_clause 0x2
	global_load_b32 v5, v31, s[20:21] offset:1120
	global_load_b32 v6, v31, s[20:21] offset:1260
	;; [unrolled: 1-line block ×3, first 2 shown]
	v_mad_co_u64_u32 v[11:12], null, s7, v12, v[11:12]
	s_wait_dscnt 0x2
	v_mad_co_u64_u32 v[23:24], null, s5, v32, v[14:15]
	v_lshrrev_b32_e32 v24, 16, v26
	s_delay_alu instid0(VALU_DEP_3)
	v_mov_b32_e32 v14, v11
	v_lshrrev_b32_e32 v27, 16, v15
	v_lshrrev_b32_e32 v28, 16, v16
	s_wait_dscnt 0x1
	v_lshrrev_b32_e32 v29, 16, v17
	v_lshrrev_b32_e32 v30, 16, v18
	v_lshlrev_b64_e32 v[11:12], 2, v[13:14]
	v_mov_b32_e32 v20, v23
	s_wait_dscnt 0x0
	v_lshrrev_b32_e32 v32, 16, v21
	v_lshrrev_b32_e32 v41, 16, v22
	s_delay_alu instid0(VALU_DEP_3)
	v_lshlrev_b64_e32 v[19:20], 2, v[19:20]
	s_wait_loadcnt 0xa
	v_lshrrev_b32_e32 v33, 16, v0
	s_wait_loadcnt 0x9
	v_lshrrev_b32_e32 v13, 16, v1
	;; [unrolled: 2-line block ×5, first 2 shown]
	v_mul_f16_e32 v14, v24, v33
	v_mul_f16_e32 v37, v15, v13
	;; [unrolled: 1-line block ×4, first 2 shown]
	s_wait_loadcnt 0x5
	v_lshrrev_b32_e32 v36, 16, v25
	v_fmac_f16_e32 v14, v26, v0
	v_mul_f16_e32 v26, v26, v33
	v_mul_f16_e32 v33, v27, v13
	v_fmac_f16_e32 v38, v16, v8
	v_fma_f16 v8, v8, v28, -v23
	v_cvt_f32_f16_e32 v13, v14
	v_fma_f16 v0, v0, v24, -v26
	v_fmac_f16_e32 v33, v15, v1
	v_fma_f16 v15, v1, v27, -v37
	v_mul_f16_e32 v26, v29, v34
	v_cvt_f64_f32_e32 v[13:14], v13
	v_cvt_f32_f16_e32 v0, v0
	v_cvt_f32_f16_e32 v24, v33
	;; [unrolled: 1-line block ×3, first 2 shown]
	v_mul_f16_e32 v34, v17, v34
	v_cvt_f32_f16_e32 v28, v38
	v_cvt_f64_f32_e32 v[0:1], v0
	v_cvt_f64_f32_e32 v[15:16], v24
	;; [unrolled: 1-line block ×3, first 2 shown]
	v_mul_f16_e32 v39, v30, v35
	v_fmac_f16_e32 v26, v17, v9
	v_cvt_f32_f16_e32 v17, v8
	v_fma_f16 v29, v9, v29, -v34
	v_cvt_f64_f32_e32 v[8:9], v28
	v_mul_f16_e32 v27, v18, v35
	v_mul_f16_e32 v35, v32, v36
	;; [unrolled: 1-line block ×3, first 2 shown]
	v_fmac_f16_e32 v39, v18, v10
	v_cvt_f32_f16_e32 v26, v26
	v_cvt_f64_f32_e32 v[17:18], v17
	v_fmac_f16_e32 v35, v21, v25
	v_cvt_f32_f16_e32 v21, v29
	v_fma_f16 v29, v25, v32, -v33
	v_cvt_f64_f32_e32 v[25:26], v26
	v_fma_f16 v10, v10, v30, -v27
	v_cvt_f32_f16_e32 v30, v39
	v_cvt_f64_f32_e32 v[27:28], v21
	v_cvt_f32_f16_e32 v21, v35
	v_cvt_f32_f16_e32 v36, v29
	;; [unrolled: 1-line block ×3, first 2 shown]
	v_cvt_f64_f32_e32 v[29:30], v30
	s_wait_loadcnt 0x4
	v_lshrrev_b32_e32 v38, 16, v40
	v_cvt_f64_f32_e32 v[34:35], v21
	v_add_co_u32 v21, vcc_lo, s8, v11
	v_cvt_f64_f32_e32 v[32:33], v10
	v_add_co_ci_u32_e32 v12, vcc_lo, s9, v12, vcc_lo
	v_mul_f64_e32 v[13:14], s[24:25], v[13:14]
	s_delay_alu instid0(VALU_DEP_4) | instskip(SKIP_1) | instid1(VALU_DEP_3)
	v_add_co_u32 v19, vcc_lo, v21, v19
	s_wait_alu 0xfffd
	v_add_co_ci_u32_e32 v20, vcc_lo, v12, v20, vcc_lo
	v_cvt_f64_f32_e32 v[36:37], v36
	v_mul_f64_e32 v[10:11], s[24:25], v[0:1]
	v_mul_f64_e32 v[15:16], s[24:25], v[15:16]
	;; [unrolled: 1-line block ×3, first 2 shown]
	v_mul_f16_e32 v0, v41, v38
	v_mul_f16_e32 v1, v22, v38
	v_add_co_u32 v38, vcc_lo, v19, s22
	v_mul_f64_e32 v[8:9], s[24:25], v[8:9]
	s_wait_alu 0xfffd
	v_add_co_ci_u32_e32 v39, vcc_lo, s23, v20, vcc_lo
	s_delay_alu instid0(VALU_DEP_3)
	v_add_co_u32 v21, vcc_lo, v38, s22
	v_fmac_f16_e32 v0, v22, v40
	v_mul_f64_e32 v[17:18], s[24:25], v[17:18]
	s_wait_alu 0xfffd
	v_add_co_ci_u32_e32 v22, vcc_lo, s23, v39, vcc_lo
	v_fma_f16 v1, v40, v41, -v1
	v_mul_f64_e32 v[25:26], s[24:25], v[25:26]
	v_add_co_u32 v40, vcc_lo, v21, s22
	v_mul_f64_e32 v[27:28], s[24:25], v[27:28]
	s_wait_alu 0xfffd
	v_add_co_ci_u32_e32 v41, vcc_lo, s23, v22, vcc_lo
	v_cvt_f32_f16_e32 v0, v0
	v_mul_f64_e32 v[29:30], s[24:25], v[29:30]
	v_cvt_f32_f16_e32 v1, v1
	v_mul_f64_e32 v[34:35], s[24:25], v[34:35]
	s_delay_alu instid0(VALU_DEP_4) | instskip(SKIP_1) | instid1(VALU_DEP_4)
	v_cvt_f64_f32_e32 v[42:43], v0
	v_mul_f64_e32 v[32:33], s[24:25], v[32:33]
	v_cvt_f64_f32_e32 v[44:45], v1
	v_and_or_b32 v12, 0x1ff, v14, v13
	v_lshrrev_b32_e32 v13, 8, v14
	v_mul_f64_e32 v[0:1], s[24:25], v[36:37]
	v_and_or_b32 v10, 0x1ff, v11, v10
	s_delay_alu instid0(VALU_DEP_4)
	v_cmp_ne_u32_e32 vcc_lo, 0, v12
	v_and_or_b32 v15, 0x1ff, v16, v15
	v_and_or_b32 v23, 0x1ff, v24, v23
	v_bfe_u32 v36, v14, 20, 11
	v_lshrrev_b32_e32 v37, 8, v11
	s_wait_alu 0xfffd
	v_cndmask_b32_e64 v12, 0, 1, vcc_lo
	v_cmp_ne_u32_e32 vcc_lo, 0, v10
	v_and_or_b32 v8, 0x1ff, v9, v8
	v_bfe_u32 v46, v11, 20, 11
	v_lshrrev_b32_e32 v47, 8, v16
	v_and_or_b32 v12, 0xffe, v13, v12
	s_wait_alu 0xfffd
	v_cndmask_b32_e64 v10, 0, 1, vcc_lo
	v_cmp_ne_u32_e32 vcc_lo, 0, v15
	v_and_or_b32 v17, 0x1ff, v18, v17
	v_bfe_u32 v48, v16, 20, 11
	v_bfe_u32 v50, v24, 20, 11
	v_and_or_b32 v25, 0x1ff, v26, v25
	s_wait_alu 0xfffd
	v_cndmask_b32_e64 v15, 0, 1, vcc_lo
	v_cmp_ne_u32_e32 vcc_lo, 0, v23
	v_and_or_b32 v27, 0x1ff, v28, v27
	v_sub_nc_u32_e32 v65, 0x3f1, v36
	v_add_nc_u32_e32 v36, 0xfffffc10, v36
	v_sub_nc_u32_e32 v66, 0x3f1, v46
	s_wait_alu 0xfffd
	v_cndmask_b32_e64 v23, 0, 1, vcc_lo
	v_cmp_ne_u32_e32 vcc_lo, 0, v8
	v_and_or_b32 v29, 0x1ff, v30, v29
	v_and_or_b32 v34, 0x1ff, v35, v34
	;; [unrolled: 1-line block ×4, first 2 shown]
	s_wait_alu 0xfffd
	v_cndmask_b32_e64 v8, 0, 1, vcc_lo
	v_cmp_ne_u32_e32 vcc_lo, 0, v17
	v_lshrrev_b32_e32 v49, 8, v24
	v_bfe_u32 v52, v9, 20, 11
	v_bfe_u32 v54, v18, 20, 11
	v_add_nc_u32_e32 v46, 0xfffffc10, v46
	s_wait_alu 0xfffd
	v_cndmask_b32_e64 v17, 0, 1, vcc_lo
	v_cmp_ne_u32_e32 vcc_lo, 0, v25
	v_sub_nc_u32_e32 v67, 0x3f1, v48
	v_sub_nc_u32_e32 v68, 0x3f1, v50
	v_med3_i32 v13, v65, 0, 13
	v_med3_i32 v37, v66, 0, 13
	s_wait_alu 0xfffd
	v_cndmask_b32_e64 v25, 0, 1, vcc_lo
	v_cmp_ne_u32_e32 vcc_lo, 0, v27
	v_and_or_b32 v15, 0xffe, v47, v15
	v_or_b32_e32 v65, 0x1000, v12
	v_lshl_or_b32 v66, v36, 12, v12
	v_lshrrev_b32_e32 v51, 8, v9
	s_wait_alu 0xfffd
	v_cndmask_b32_e64 v27, 0, 1, vcc_lo
	v_cmp_ne_u32_e32 vcc_lo, 0, v29
	v_lshrrev_b32_e32 v53, 8, v18
	v_bfe_u32 v56, v26, 20, 11
	v_bfe_u32 v58, v28, 20, 11
	v_add_nc_u32_e32 v48, 0xfffffc10, v48
	s_wait_alu 0xfffd
	v_cndmask_b32_e64 v29, 0, 1, vcc_lo
	v_cmp_ne_u32_e32 vcc_lo, 0, v32
	v_sub_nc_u32_e32 v69, 0x3f1, v52
	v_sub_nc_u32_e32 v70, 0x3f1, v54
	v_med3_i32 v47, v67, 0, 13
	v_and_or_b32 v23, 0xffe, v49, v23
	s_wait_alu 0xfffd
	v_cndmask_b32_e64 v32, 0, 1, vcc_lo
	v_cmp_ne_u32_e32 vcc_lo, 0, v34
	v_med3_i32 v49, v68, 0, 13
	v_or_b32_e32 v67, 0x1000, v10
	v_lshl_or_b32 v68, v46, 12, v10
	v_lshrrev_b32_e32 v55, 8, v26
	s_wait_alu 0xfffd
	v_cndmask_b32_e64 v34, 0, 1, vcc_lo
	v_cmp_ne_u32_e32 vcc_lo, 0, v12
	v_lshrrev_b32_e32 v57, 8, v28
	v_bfe_u32 v60, v30, 20, 11
	v_bfe_u32 v62, v33, 20, 11
	v_add_nc_u32_e32 v50, 0xfffffc10, v50
	s_wait_alu 0xfffd
	v_cndmask_b32_e64 v12, 0, 1, vcc_lo
	v_cmp_ne_u32_e32 vcc_lo, 0, v10
	v_sub_nc_u32_e32 v71, 0x3f1, v56
	v_sub_nc_u32_e32 v72, 0x3f1, v58
	v_and_or_b32 v8, 0xffe, v51, v8
	v_med3_i32 v51, v69, 0, 13
	s_wait_alu 0xfffd
	v_cndmask_b32_e64 v10, 0, 1, vcc_lo
	v_cmp_ne_u32_e32 vcc_lo, 0, v15
	v_and_or_b32 v17, 0xffe, v53, v17
	v_med3_i32 v53, v70, 0, 13
	v_or_b32_e32 v69, 0x1000, v15
	v_lshl_or_b32 v70, v48, 12, v15
	s_wait_alu 0xfffd
	v_cndmask_b32_e64 v15, 0, 1, vcc_lo
	v_cmp_ne_u32_e32 vcc_lo, 0, v23
	v_lshrrev_b32_e32 v59, 8, v30
	v_lshrrev_b32_e32 v61, 8, v33
	v_bfe_u32 v64, v35, 20, 11
	v_add_nc_u32_e32 v52, 0xfffffc10, v52
	v_sub_nc_u32_e32 v73, 0x3f1, v60
	v_sub_nc_u32_e32 v74, 0x3f1, v62
	v_and_or_b32 v25, 0xffe, v55, v25
	v_med3_i32 v55, v71, 0, 13
	v_and_or_b32 v27, 0xffe, v57, v27
	v_med3_i32 v57, v72, 0, 13
	v_or_b32_e32 v71, 0x1000, v23
	v_lshl_or_b32 v72, v50, 12, v23
	s_wait_alu 0xfffd
	v_cndmask_b32_e64 v23, 0, 1, vcc_lo
	v_cmp_ne_u32_e32 vcc_lo, 0, v8
	v_lshrrev_b32_e32 v63, 8, v35
	v_add_nc_u32_e32 v54, 0xfffffc10, v54
	v_sub_nc_u32_e32 v75, 0x3f1, v64
	v_and_or_b32 v29, 0xffe, v59, v29
	v_med3_i32 v59, v73, 0, 13
	v_and_or_b32 v32, 0xffe, v61, v32
	v_med3_i32 v61, v74, 0, 13
	v_or_b32_e32 v73, 0x1000, v8
	v_lshl_or_b32 v74, v52, 12, v8
	s_wait_alu 0xfffd
	v_cndmask_b32_e64 v8, 0, 1, vcc_lo
	v_cmp_ne_u32_e32 vcc_lo, 0, v17
	v_add_nc_u32_e32 v56, 0xfffffc10, v56
	v_and_or_b32 v34, 0xffe, v63, v34
	v_med3_i32 v63, v75, 0, 13
	v_or_b32_e32 v75, 0x1000, v17
	v_lshl_or_b32 v76, v54, 12, v17
	s_wait_alu 0xfffd
	v_cndmask_b32_e64 v17, 0, 1, vcc_lo
	v_cmp_ne_u32_e32 vcc_lo, 0, v25
	v_add_nc_u32_e32 v58, 0xfffffc10, v58
	v_or_b32_e32 v77, 0x1000, v25
	v_lshl_or_b32 v78, v56, 12, v25
	v_add_nc_u32_e32 v60, 0xfffffc10, v60
	s_wait_alu 0xfffd
	v_cndmask_b32_e64 v25, 0, 1, vcc_lo
	v_cmp_ne_u32_e32 vcc_lo, 0, v27
	v_or_b32_e32 v79, 0x1000, v27
	v_lshl_or_b32 v80, v58, 12, v27
	v_lshrrev_b32_e32 v87, v13, v65
	v_add_nc_u32_e32 v62, 0xfffffc10, v62
	s_wait_alu 0xfffd
	v_cndmask_b32_e64 v27, 0, 1, vcc_lo
	v_cmp_ne_u32_e32 vcc_lo, 0, v29
	v_or_b32_e32 v81, 0x1000, v29
	v_lshl_or_b32 v82, v60, 12, v29
	v_lshrrev_b32_e32 v88, v37, v67
	v_lshlrev_b32_e32 v13, v13, v87
	s_wait_alu 0xfffd
	v_cndmask_b32_e64 v29, 0, 1, vcc_lo
	v_cmp_ne_u32_e32 vcc_lo, 0, v32
	v_or_b32_e32 v83, 0x1000, v32
	v_lshl_or_b32 v84, v62, 12, v32
	v_lshrrev_b32_e32 v89, v47, v69
	v_lshlrev_b32_e32 v37, v37, v88
	s_wait_alu 0xfffd
	v_cndmask_b32_e64 v32, 0, 1, vcc_lo
	v_cmp_ne_u32_e32 vcc_lo, v13, v65
	v_lshl_or_b32 v12, v12, 9, 0x7c00
	v_lshrrev_b32_e32 v90, v49, v71
	v_lshlrev_b32_e32 v47, v47, v89
	v_lshrrev_b32_e32 v91, v51, v73
	s_wait_alu 0xfffd
	v_cndmask_b32_e64 v13, 0, 1, vcc_lo
	v_cmp_ne_u32_e32 vcc_lo, v37, v67
	v_lshl_or_b32 v8, v8, 9, 0x7c00
	v_lshlrev_b32_e32 v49, v49, v90
	v_lshl_or_b32 v10, v10, 9, 0x7c00
	v_lshrrev_b32_e32 v92, v53, v75
	s_wait_alu 0xfffd
	v_cndmask_b32_e64 v37, 0, 1, vcc_lo
	v_cmp_ne_u32_e32 vcc_lo, v47, v69
	v_lshlrev_b32_e32 v51, v51, v91
	v_lshrrev_b32_e32 v93, v55, v77
	v_lshlrev_b32_e32 v53, v53, v92
	v_lshrrev_b32_e32 v94, v57, v79
	s_wait_alu 0xfffd
	v_cndmask_b32_e64 v47, 0, 1, vcc_lo
	v_cmp_ne_u32_e32 vcc_lo, v49, v71
	v_lshl_or_b32 v32, v32, 9, 0x7c00
	v_lshlrev_b32_e32 v55, v55, v93
	v_lshrrev_b32_e32 v95, v59, v81
	v_lshlrev_b32_e32 v57, v57, v94
	s_wait_alu 0xfffd
	v_cndmask_b32_e64 v49, 0, 1, vcc_lo
	v_cmp_ne_u32_e32 vcc_lo, v51, v73
	v_or_b32_e32 v85, 0x1000, v34
	v_lshrrev_b32_e32 v96, v61, v83
	v_lshlrev_b32_e32 v59, v59, v95
	v_or_b32_e32 v13, v87, v13
	s_wait_alu 0xfffd
	v_cndmask_b32_e64 v51, 0, 1, vcc_lo
	v_cmp_ne_u32_e32 vcc_lo, v53, v75
	v_lshrrev_b32_e32 v97, v63, v85
	v_lshlrev_b32_e32 v61, v61, v96
	v_or_b32_e32 v37, v88, v37
	v_or_b32_e32 v47, v89, v47
	s_wait_alu 0xfffd
	v_cndmask_b32_e64 v53, 0, 1, vcc_lo
	v_cmp_ne_u32_e32 vcc_lo, v55, v77
	v_lshlrev_b32_e32 v63, v63, v97
	v_or_b32_e32 v49, v90, v49
	v_or_b32_e32 v51, v91, v51
	;; [unrolled: 1-line block ×3, first 2 shown]
	s_wait_alu 0xfffd
	v_cndmask_b32_e64 v55, 0, 1, vcc_lo
	v_cmp_ne_u32_e32 vcc_lo, v57, v79
	v_lshl_or_b32 v23, v23, 9, 0x7c00
	v_lshl_or_b32 v15, v15, 9, 0x7c00
	v_lshrrev_b32_e32 v14, 16, v14
	v_or_b32_e32 v55, v93, v55
	s_wait_alu 0xfffd
	v_cndmask_b32_e64 v57, 0, 1, vcc_lo
	v_cmp_ne_u32_e32 vcc_lo, v59, v81
	v_lshl_or_b32 v17, v17, 9, 0x7c00
	v_lshrrev_b32_e32 v9, 16, v9
	v_lshl_or_b32 v25, v25, 9, 0x7c00
	v_or_b32_e32 v57, v94, v57
	s_wait_alu 0xfffd
	v_cndmask_b32_e64 v59, 0, 1, vcc_lo
	v_cmp_ne_u32_e32 vcc_lo, v61, v83
	v_lshrrev_b32_e32 v11, 16, v11
	v_lshrrev_b32_e32 v16, 16, v16
	;; [unrolled: 1-line block ×3, first 2 shown]
	v_or_b32_e32 v59, v95, v59
	s_wait_alu 0xfffd
	v_cndmask_b32_e64 v61, 0, 1, vcc_lo
	v_cmp_ne_u32_e32 vcc_lo, v63, v85
	v_lshl_or_b32 v27, v27, 9, 0x7c00
	v_lshrrev_b32_e32 v24, 16, v24
	v_lshrrev_b32_e32 v18, 16, v18
	v_or_b32_e32 v61, v96, v61
	s_wait_alu 0xfffd
	v_cndmask_b32_e64 v63, 0, 1, vcc_lo
	v_cmp_gt_i32_e32 vcc_lo, 1, v36
	v_lshrrev_b32_e32 v28, 16, v28
	v_lshl_or_b32 v29, v29, 9, 0x7c00
	v_and_or_b32 v0, 0x1ff, v1, v0
	v_or_b32_e32 v63, v97, v63
	s_wait_alu 0xfffd
	v_cndmask_b32_e32 v13, v66, v13, vcc_lo
	v_cmp_gt_i32_e32 vcc_lo, 1, v46
	v_lshrrev_b32_e32 v33, 16, v33
	v_lshrrev_b32_e32 v30, 16, v30
	s_delay_alu instid0(VALU_DEP_4)
	v_and_b32_e32 v65, 7, v13
	s_wait_alu 0xfffd
	v_cndmask_b32_e32 v37, v68, v37, vcc_lo
	v_cmp_gt_i32_e32 vcc_lo, 1, v48
	v_lshrrev_b32_e32 v13, 2, v13
	v_cmp_eq_u32_e64 s0, 3, v65
	s_wait_alu 0xfffd
	v_dual_cndmask_b32 v47, v70, v47 :: v_dual_and_b32 v66, 7, v37
	v_cmp_gt_i32_e32 vcc_lo, 1, v50
	v_lshrrev_b32_e32 v37, 2, v37
	s_delay_alu instid0(VALU_DEP_3) | instskip(NEXT) | instid1(VALU_DEP_4)
	v_cmp_lt_i32_e64 s1, 5, v66
	v_and_b32_e32 v67, 7, v47
	s_wait_alu 0xfffd
	v_cndmask_b32_e32 v49, v72, v49, vcc_lo
	v_cmp_gt_i32_e32 vcc_lo, 1, v52
	v_cmp_eq_u32_e64 s2, 3, v66
	v_lshrrev_b32_e32 v47, 2, v47
	v_cmp_lt_i32_e64 s3, 5, v67
	s_wait_alu 0xfffd
	v_dual_cndmask_b32 v51, v74, v51 :: v_dual_and_b32 v68, 7, v49
	v_cmp_gt_i32_e32 vcc_lo, 1, v54
	v_cmp_eq_u32_e64 s4, 3, v67
	v_lshrrev_b32_e32 v49, 2, v49
	s_delay_alu instid0(VALU_DEP_4)
	v_cmp_lt_i32_e64 s5, 5, v68
	v_and_b32_e32 v69, 7, v51
	s_wait_alu 0xfffd
	v_cndmask_b32_e32 v53, v76, v53, vcc_lo
	v_cmp_gt_i32_e32 vcc_lo, 1, v56
	v_cmp_eq_u32_e64 s6, 3, v68
	v_lshrrev_b32_e32 v51, 2, v51
	v_cmp_lt_i32_e64 s7, 5, v69
	s_wait_alu 0xfffd
	v_dual_cndmask_b32 v55, v78, v55 :: v_dual_and_b32 v70, 7, v53
	v_cmp_gt_i32_e32 vcc_lo, 1, v58
	v_cmp_eq_u32_e64 s8, 3, v69
	v_lshrrev_b32_e32 v53, 2, v53
	s_delay_alu instid0(VALU_DEP_4)
	;; [unrolled: 14-line block ×3, first 2 shown]
	v_cmp_lt_i32_e64 s13, 5, v72
	v_and_b32_e32 v73, 7, v59
	s_wait_alu 0xfffd
	v_cndmask_b32_e32 v61, v84, v61, vcc_lo
	v_cmp_lt_i32_e32 vcc_lo, 5, v65
	v_cmp_eq_u32_e64 s14, 3, v72
	v_lshrrev_b32_e32 v59, 2, v59
	v_cmp_lt_i32_e64 s15, 5, v73
	v_and_b32_e32 v74, 7, v61
	s_or_b32 vcc_lo, s0, vcc_lo
	v_cmp_eq_u32_e64 s16, 3, v73
	s_wait_alu 0xfffe
	v_add_co_ci_u32_e32 v13, vcc_lo, 0, v13, vcc_lo
	s_or_b32 vcc_lo, s2, s1
	v_cmp_lt_i32_e64 s17, 5, v74
	s_wait_alu 0xfffe
	v_add_co_ci_u32_e32 v37, vcc_lo, 0, v37, vcc_lo
	s_or_b32 vcc_lo, s4, s3
	v_cmp_eq_u32_e64 s18, 3, v74
	s_wait_alu 0xfffe
	v_add_co_ci_u32_e32 v47, vcc_lo, 0, v47, vcc_lo
	s_or_b32 vcc_lo, s6, s5
	v_lshrrev_b32_e32 v61, 2, v61
	s_wait_alu 0xfffe
	v_add_co_ci_u32_e32 v49, vcc_lo, 0, v49, vcc_lo
	s_or_b32 vcc_lo, s8, s7
	s_wait_alu 0xfffe
	v_add_co_ci_u32_e32 v51, vcc_lo, 0, v51, vcc_lo
	s_or_b32 vcc_lo, s10, s9
	;; [unrolled: 3-line block ×6, first 2 shown]
	s_wait_alu 0xfffe
	v_add_co_ci_u32_e32 v61, vcc_lo, 0, v61, vcc_lo
	v_cmp_gt_i32_e32 vcc_lo, 31, v36
	s_wait_alu 0xfffd
	v_cndmask_b32_e32 v13, 0x7c00, v13, vcc_lo
	v_cmp_gt_i32_e32 vcc_lo, 31, v46
	s_wait_alu 0xfffd
	v_cndmask_b32_e32 v37, 0x7c00, v37, vcc_lo
	;; [unrolled: 3-line block ×10, first 2 shown]
	v_cmp_eq_u32_e32 vcc_lo, 0x40f, v36
	s_wait_alu 0xfffd
	v_cndmask_b32_e32 v12, v13, v12, vcc_lo
	v_cmp_eq_u32_e32 vcc_lo, 0x40f, v46
	s_delay_alu instid0(VALU_DEP_2)
	v_and_or_b32 v12, 0x8000, v14, v12
	s_wait_alu 0xfffd
	v_cndmask_b32_e32 v10, v37, v10, vcc_lo
	v_cmp_eq_u32_e32 vcc_lo, 0x40f, v48
	v_add_nc_u32_e32 v64, 0xfffffc10, v64
	v_and_b32_e32 v12, 0xffff, v12
	s_delay_alu instid0(VALU_DEP_4)
	v_and_or_b32 v10, 0x8000, v11, v10
	s_wait_alu 0xfffd
	v_cndmask_b32_e32 v13, v47, v15, vcc_lo
	v_cmp_eq_u32_e32 vcc_lo, 0x40f, v50
	v_lshl_or_b32 v86, v64, 12, v34
	v_lshl_or_b32 v10, v10, 16, v12
	s_delay_alu instid0(VALU_DEP_4) | instskip(SKIP_3) | instid1(VALU_DEP_3)
	v_and_or_b32 v11, 0x8000, v16, v13
	s_wait_alu 0xfffd
	v_cndmask_b32_e32 v15, v49, v23, vcc_lo
	v_cmp_eq_u32_e32 vcc_lo, 0x40f, v52
	v_and_b32_e32 v11, 0xffff, v11
	s_delay_alu instid0(VALU_DEP_3) | instskip(SKIP_3) | instid1(VALU_DEP_3)
	v_and_or_b32 v13, 0x8000, v24, v15
	s_wait_alu 0xfffd
	v_cndmask_b32_e32 v8, v51, v8, vcc_lo
	v_cmp_eq_u32_e32 vcc_lo, 0x40f, v54
	v_lshl_or_b32 v11, v13, 16, v11
	s_delay_alu instid0(VALU_DEP_3) | instskip(SKIP_3) | instid1(VALU_DEP_3)
	v_and_or_b32 v8, 0x8000, v9, v8
	s_wait_alu 0xfffd
	v_cndmask_b32_e32 v17, v53, v17, vcc_lo
	v_cmp_eq_u32_e32 vcc_lo, 0x40f, v56
	v_and_b32_e32 v8, 0xffff, v8
	s_delay_alu instid0(VALU_DEP_3) | instskip(SKIP_3) | instid1(VALU_DEP_3)
	v_and_or_b32 v9, 0x8000, v18, v17
	s_wait_alu 0xfffd
	v_cndmask_b32_e32 v23, v55, v25, vcc_lo
	v_cmp_eq_u32_e32 vcc_lo, 0x40f, v58
	v_lshl_or_b32 v8, v9, 16, v8
	s_delay_alu instid0(VALU_DEP_3)
	v_and_or_b32 v14, 0x8000, v26, v23
	s_wait_alu 0xfffd
	v_cndmask_b32_e32 v25, v57, v27, vcc_lo
	v_cmp_eq_u32_e32 vcc_lo, 0x40f, v60
	s_wait_loadcnt 0x3
	v_lshrrev_b32_e32 v23, 16, v4
	v_and_b32_e32 v14, 0xffff, v14
	v_and_or_b32 v15, 0x8000, v28, v25
	s_wait_alu 0xfffd
	v_cndmask_b32_e32 v27, v59, v29, vcc_lo
	v_cmp_eq_u32_e32 vcc_lo, 0x40f, v62
	s_delay_alu instid0(VALU_DEP_3)
	v_lshl_or_b32 v9, v15, 16, v14
	s_clause 0x3
	global_store_b32 v[19:20], v10, off
	global_store_b32 v[38:39], v11, off
	;; [unrolled: 1-line block ×4, first 2 shown]
	s_wait_alu 0xfffd
	v_cndmask_b32_e32 v16, v61, v32, vcc_lo
	v_cmp_gt_i32_e32 vcc_lo, 1, v64
	v_mul_f64_e32 v[8:9], s[24:25], v[42:43]
	v_lshrrev_b32_e32 v10, 8, v1
	v_and_or_b32 v12, 0x8000, v30, v27
	v_and_or_b32 v13, 0x8000, v33, v16
	s_wait_alu 0xfffd
	v_cndmask_b32_e32 v14, v86, v63, vcc_lo
	v_cmp_ne_u32_e32 vcc_lo, 0, v0
	v_bfe_u32 v16, v1, 20, 11
	v_and_b32_e32 v12, 0xffff, v12
	v_lshrrev_b32_e32 v1, 16, v1
	v_and_b32_e32 v15, 7, v14
	s_wait_alu 0xfffd
	v_cndmask_b32_e64 v0, 0, 1, vcc_lo
	v_lshrrev_b32_e32 v19, 2, v14
	v_lshl_or_b32 v18, v13, 16, v12
	v_add_co_u32 v12, s1, v40, s22
	s_delay_alu instid0(VALU_DEP_4)
	v_and_or_b32 v0, 0xffe, v10, v0
	ds_load_2addr_b32 v[10:11], v3 offset0:117 offset1:152
	v_sub_nc_u32_e32 v3, 0x3f1, v16
	v_cmp_lt_i32_e32 vcc_lo, 5, v15
	v_cmp_eq_u32_e64 s0, 3, v15
	v_or_b32_e32 v17, 0x1000, v0
	v_mul_f64_e32 v[14:15], s[24:25], v[44:45]
	v_med3_i32 v3, v3, 0, 13
	s_wait_alu 0xf1ff
	v_add_co_ci_u32_e64 v13, s1, s23, v41, s1
	s_or_b32 vcc_lo, s0, vcc_lo
	s_wait_alu 0xfffe
	v_add_co_ci_u32_e32 v19, vcc_lo, 0, v19, vcc_lo
	v_lshrrev_b32_e32 v20, v3, v17
	v_cmp_ne_u32_e32 vcc_lo, 0, v34
	global_store_b32 v[12:13], v18, off
	v_lshlrev_b32_e32 v3, v3, v20
	s_wait_alu 0xfffd
	v_cndmask_b32_e64 v21, 0, 1, vcc_lo
	v_cmp_gt_i32_e32 vcc_lo, 31, v64
	s_wait_dscnt 0x0
	v_lshrrev_b32_e32 v22, 16, v10
	v_and_or_b32 v8, 0x1ff, v9, v8
	v_lshrrev_b32_e32 v25, 8, v9
	v_bfe_u32 v26, v9, 20, 11
	s_wait_alu 0xfffd
	v_cndmask_b32_e32 v19, 0x7c00, v19, vcc_lo
	v_cmp_ne_u32_e32 vcc_lo, v3, v17
	v_mul_f16_e32 v17, v22, v23
	v_lshl_or_b32 v21, v21, 9, 0x7c00
	v_lshrrev_b32_e32 v9, 16, v9
	s_wait_alu 0xfffd
	v_cndmask_b32_e64 v3, 0, 1, vcc_lo
	v_fmac_f16_e32 v17, v10, v4
	v_cmp_ne_u32_e32 vcc_lo, 0, v8
	v_mul_f16_e32 v10, v10, v23
	s_delay_alu instid0(VALU_DEP_4)
	v_or_b32_e32 v3, v20, v3
	v_add_nc_u32_e32 v24, 0xfffffc10, v16
	s_wait_alu 0xfffd
	v_cndmask_b32_e64 v8, 0, 1, vcc_lo
	v_cvt_f32_f16_e32 v17, v17
	global_load_b32 v20, v31, s[20:21] offset:1540
	v_fma_f16 v4, v4, v22, -v10
	v_lshl_or_b32 v16, v24, 12, v0
	v_cmp_gt_i32_e32 vcc_lo, 1, v24
	v_and_or_b32 v8, 0xffe, v25, v8
	v_sub_nc_u32_e32 v25, 0x3f1, v26
	v_and_or_b32 v14, 0x1ff, v15, v14
	s_wait_alu 0xfffd
	v_dual_cndmask_b32 v3, v16, v3 :: v_dual_add_nc_u32 v22, 0xfffffc10, v26
	v_cvt_f64_f32_e32 v[16:17], v17
	v_cmp_eq_u32_e32 vcc_lo, 0x40f, v64
	v_or_b32_e32 v28, 0x1000, v8
	v_med3_i32 v25, v25, 0, 13
	v_and_b32_e32 v27, 7, v3
	v_cmp_ne_u32_e64 s1, 0, v14
	s_wait_alu 0xfffd
	v_cndmask_b32_e32 v19, v19, v21, vcc_lo
	v_lshrrev_b32_e32 v21, 16, v35
	v_bfe_u32 v29, v15, 20, 11
	v_cmp_lt_i32_e32 vcc_lo, 5, v27
	v_cmp_eq_u32_e64 s0, 3, v27
	s_wait_alu 0xf1ff
	v_cndmask_b32_e64 v14, 0, 1, s1
	v_and_or_b32 v19, 0x8000, v21, v19
	v_lshrrev_b32_e32 v21, v25, v28
	v_lshrrev_b32_e32 v27, 8, v15
	;; [unrolled: 1-line block ×3, first 2 shown]
	s_or_b32 vcc_lo, s0, vcc_lo
	v_cvt_f32_f16_e32 v4, v4
	v_lshlrev_b32_e32 v23, v25, v21
	v_and_or_b32 v14, 0xffe, v27, v14
	v_sub_nc_u32_e32 v25, 0x3f1, v29
	s_wait_alu 0xfffe
	v_add_co_ci_u32_e32 v26, vcc_lo, 0, v3, vcc_lo
	v_cmp_ne_u32_e64 s1, v23, v28
	v_or_b32_e32 v23, 0x1000, v14
	v_med3_i32 v25, v25, 0, 13
	v_cmp_ne_u32_e32 vcc_lo, 0, v0
	v_cvt_f64_f32_e32 v[3:4], v4
	s_wait_alu 0xf1ff
	v_cndmask_b32_e64 v10, 0, 1, s1
	v_and_b32_e32 v19, 0xffff, v19
	v_lshrrev_b32_e32 v27, v25, v23
	s_wait_alu 0xfffd
	v_cndmask_b32_e64 v0, 0, 1, vcc_lo
	v_cmp_gt_i32_e32 vcc_lo, 1, v22
	v_or_b32_e32 v10, v21, v10
	v_lshl_or_b32 v21, v22, 12, v8
	v_lshrrev_b32_e32 v15, 16, v15
	v_lshl_or_b32 v0, v0, 9, 0x7c00
	v_mul_f64_e32 v[16:17], s[24:25], v[16:17]
	s_wait_alu 0xfffd
	v_cndmask_b32_e32 v10, v21, v10, vcc_lo
	v_lshlrev_b32_e32 v21, v25, v27
	v_cmp_gt_i32_e32 vcc_lo, 31, v24
	s_wait_alu 0xfffd
	v_cndmask_b32_e32 v25, 0x7c00, v26, vcc_lo
	s_delay_alu instid0(VALU_DEP_3)
	v_cmp_ne_u32_e32 vcc_lo, v21, v23
	v_and_b32_e32 v26, 7, v10
	v_add_nc_u32_e32 v23, 0xfffffc10, v29
	v_lshrrev_b32_e32 v10, 2, v10
	s_wait_alu 0xfffd
	v_cndmask_b32_e64 v21, 0, 1, vcc_lo
	v_cmp_eq_u32_e32 vcc_lo, 0x40f, v24
	v_cmp_eq_u32_e64 s0, 3, v26
	v_lshl_or_b32 v24, v23, 12, v14
	v_cmp_gt_i32_e64 s1, 1, v23
	v_or_b32_e32 v21, v27, v21
	s_wait_alu 0xfffd
	v_cndmask_b32_e32 v0, v25, v0, vcc_lo
	v_cmp_lt_i32_e32 vcc_lo, 5, v26
	v_lshrrev_b32_e32 v26, 16, v11
	s_wait_loadcnt 0x3
	v_lshrrev_b32_e32 v27, 16, v5
	s_wait_alu 0xf1ff
	v_cndmask_b32_e64 v21, v24, v21, s1
	v_and_or_b32 v24, 0x8000, v1, v0
	s_or_b32 vcc_lo, s0, vcc_lo
	v_mul_f64_e32 v[0:1], s[24:25], v[3:4]
	s_wait_alu 0xfffe
	v_add_co_ci_u32_e32 v10, vcc_lo, 0, v10, vcc_lo
	v_cmp_gt_i32_e32 vcc_lo, 31, v22
	v_and_b32_e32 v25, 7, v21
	v_lshrrev_b32_e32 v3, 2, v21
	v_mul_f16_e32 v4, v26, v27
	v_lshl_or_b32 v18, v24, 16, v19
	s_wait_alu 0xfffd
	v_cndmask_b32_e32 v10, 0x7c00, v10, vcc_lo
	v_cmp_ne_u32_e32 vcc_lo, 0, v8
	v_cmp_eq_u32_e64 s0, 3, v25
	v_and_or_b32 v16, 0x1ff, v17, v16
	v_fmac_f16_e32 v4, v11, v5
	s_wait_alu 0xfffd
	v_cndmask_b32_e64 v8, 0, 1, vcc_lo
	v_cmp_lt_i32_e32 vcc_lo, 5, v25
	v_bfe_u32 v25, v17, 20, 11
	v_cvt_f32_f16_e32 v4, v4
	s_delay_alu instid0(VALU_DEP_4) | instskip(SKIP_1) | instid1(VALU_DEP_3)
	v_lshl_or_b32 v8, v8, 9, 0x7c00
	s_or_b32 vcc_lo, s0, vcc_lo
	v_sub_nc_u32_e32 v28, 0x3f1, v25
	s_wait_alu 0xfffe
	v_add_co_ci_u32_e32 v21, vcc_lo, 0, v3, vcc_lo
	v_cmp_ne_u32_e32 vcc_lo, 0, v16
	v_lshrrev_b32_e32 v16, 8, v17
	v_med3_i32 v28, v28, 0, 13
	v_lshrrev_b32_e32 v17, 16, v17
	s_wait_alu 0xfffd
	v_cndmask_b32_e64 v3, 0, 1, vcc_lo
	v_cmp_ne_u32_e32 vcc_lo, 0, v14
	s_delay_alu instid0(VALU_DEP_2)
	v_and_or_b32 v16, 0xffe, v16, v3
	s_wait_alu 0xfffd
	v_cndmask_b32_e64 v14, 0, 1, vcc_lo
	v_cmp_gt_i32_e32 vcc_lo, 31, v23
	v_cvt_f64_f32_e32 v[3:4], v4
	v_and_or_b32 v0, 0x1ff, v1, v0
	v_or_b32_e32 v29, 0x1000, v16
	v_lshl_or_b32 v14, v14, 9, 0x7c00
	s_wait_alu 0xfffd
	v_cndmask_b32_e32 v21, 0x7c00, v21, vcc_lo
	v_cmp_eq_u32_e32 vcc_lo, 0x40f, v22
	s_wait_alu 0xfffd
	v_cndmask_b32_e32 v8, v10, v8, vcc_lo
	v_lshrrev_b32_e32 v10, v28, v29
	v_cmp_eq_u32_e32 vcc_lo, 0x40f, v23
	s_delay_alu instid0(VALU_DEP_2)
	v_lshlrev_b32_e32 v19, v28, v10
	s_wait_alu 0xfffd
	v_cndmask_b32_e32 v14, v21, v14, vcc_lo
	v_and_or_b32 v21, 0x8000, v9, v8
	v_mul_f16_e32 v8, v11, v27
	v_cmp_ne_u32_e32 vcc_lo, v19, v29
	v_bfe_u32 v19, v1, 20, 11
	v_and_or_b32 v14, 0x8000, v15, v14
	s_delay_alu instid0(VALU_DEP_4)
	v_fma_f16 v5, v5, v26, -v8
	v_lshrrev_b32_e32 v8, 8, v1
	s_wait_alu 0xfffd
	v_cndmask_b32_e64 v9, 0, 1, vcc_lo
	v_cmp_ne_u32_e32 vcc_lo, 0, v0
	v_add_nc_u32_e32 v15, 0xfffffc10, v25
	v_sub_nc_u32_e32 v22, 0x3f1, v19
	v_cvt_f32_f16_e32 v5, v5
	v_or_b32_e32 v10, v10, v9
	s_wait_alu 0xfffd
	v_cndmask_b32_e64 v0, 0, 1, vcc_lo
	v_lshl_or_b32 v11, v15, 12, v16
	v_cmp_gt_i32_e32 vcc_lo, 1, v15
	v_med3_i32 v22, v22, 0, 13
	v_and_b32_e32 v21, 0xffff, v21
	v_and_or_b32 v0, 0xffe, v8, v0
	v_cvt_f64_f32_e32 v[8:9], v5
	v_mul_f64_e32 v[3:4], s[24:25], v[3:4]
	v_add_nc_u32_e32 v19, 0xfffffc10, v19
	v_lshl_or_b32 v21, v14, 16, v21
	v_or_b32_e32 v23, 0x1000, v0
	s_delay_alu instid0(VALU_DEP_1)
	v_lshrrev_b32_e32 v25, v22, v23
	s_wait_alu 0xfffd
	v_cndmask_b32_e32 v5, v11, v10, vcc_lo
	ds_load_2addr_b32 v[10:11], v2 offset0:59 offset1:94
	v_add_co_u32 v12, vcc_lo, v12, s22
	v_lshlrev_b32_e32 v22, v22, v25
	v_and_b32_e32 v24, 7, v5
	s_wait_alu 0xfffd
	v_add_co_ci_u32_e32 v13, vcc_lo, s23, v13, vcc_lo
	v_lshrrev_b32_e32 v5, 2, v5
	v_cmp_ne_u32_e64 s1, v22, v23
	v_cmp_lt_i32_e32 vcc_lo, 5, v24
	v_cmp_eq_u32_e64 s0, 3, v24
	s_wait_loadcnt 0x2
	v_lshrrev_b32_e32 v23, 16, v6
	v_lshl_or_b32 v24, v19, 12, v0
	s_wait_alu 0xf1ff
	v_cndmask_b32_e64 v14, 0, 1, s1
	s_or_b32 vcc_lo, s0, vcc_lo
	s_wait_alu 0xfffe
	v_add_co_ci_u32_e32 v5, vcc_lo, 0, v5, vcc_lo
	v_cmp_ne_u32_e32 vcc_lo, 0, v16
	s_wait_dscnt 0x0
	v_lshrrev_b32_e32 v22, 16, v10
	v_or_b32_e32 v14, v25, v14
	s_wait_alu 0xfffd
	v_cndmask_b32_e64 v16, 0, 1, vcc_lo
	v_cmp_gt_i32_e32 vcc_lo, 1, v19
	v_mul_f16_e32 v25, v22, v23
	v_mul_f64_e32 v[8:9], s[24:25], v[8:9]
	v_and_or_b32 v3, 0x1ff, v4, v3
	s_wait_alu 0xfffd
	v_cndmask_b32_e32 v24, v24, v14, vcc_lo
	v_cmp_gt_i32_e32 vcc_lo, 31, v15
	v_lshl_or_b32 v14, v16, 9, 0x7c00
	v_fmac_f16_e32 v25, v10, v6
	v_cmp_ne_u32_e64 s1, 0, v3
	s_wait_alu 0xfffd
	v_dual_cndmask_b32 v5, 0x7c00, v5 :: v_dual_and_b32 v16, 7, v24
	v_cmp_eq_u32_e32 vcc_lo, 0x40f, v15
	s_wait_alu 0xf1ff
	v_cndmask_b32_e64 v3, 0, 1, s1
	s_delay_alu instid0(VALU_DEP_3)
	v_cmp_eq_u32_e64 s0, 3, v16
	s_wait_alu 0xfffd
	v_cndmask_b32_e32 v5, v5, v14, vcc_lo
	v_cvt_f32_f16_e32 v14, v25
	v_cmp_lt_i32_e32 vcc_lo, 5, v16
	v_lshrrev_b32_e32 v16, 2, v24
	v_lshrrev_b32_e32 v24, 8, v4
	v_bfe_u32 v25, v4, 20, 11
	v_cvt_f64_f32_e32 v[14:15], v14
	s_or_b32 vcc_lo, s0, vcc_lo
	v_and_or_b32 v5, 0x8000, v17, v5
	s_wait_alu 0xfffe
	v_add_co_ci_u32_e32 v16, vcc_lo, 0, v16, vcc_lo
	v_cmp_ne_u32_e32 vcc_lo, 0, v0
	v_and_or_b32 v3, 0xffe, v24, v3
	v_sub_nc_u32_e32 v24, 0x3f1, v25
	v_lshrrev_b32_e32 v17, 16, v1
	v_lshrrev_b32_e32 v4, 16, v4
	s_wait_alu 0xfffd
	v_cndmask_b32_e64 v0, 0, 1, vcc_lo
	v_cmp_gt_i32_e32 vcc_lo, 31, v19
	v_or_b32_e32 v26, 0x1000, v3
	v_med3_i32 v24, v24, 0, 13
	s_delay_alu instid0(VALU_DEP_4)
	v_lshl_or_b32 v0, v0, 9, 0x7c00
	s_wait_alu 0xfffd
	v_cndmask_b32_e32 v16, 0x7c00, v16, vcc_lo
	v_cmp_eq_u32_e32 vcc_lo, 0x40f, v19
	v_lshrrev_b32_e32 v19, v24, v26
	v_and_or_b32 v8, 0x1ff, v9, v8
	s_wait_alu 0xfffd
	v_cndmask_b32_e32 v16, v16, v0, vcc_lo
	s_delay_alu instid0(VALU_DEP_3) | instskip(SKIP_3) | instid1(VALU_DEP_3)
	v_lshlrev_b32_e32 v24, v24, v19
	v_add_co_u32 v0, vcc_lo, v12, s22
	s_wait_alu 0xfffd
	v_add_co_ci_u32_e32 v1, vcc_lo, s23, v13, vcc_lo
	v_cmp_ne_u32_e32 vcc_lo, v24, v26
	v_and_or_b32 v16, 0x8000, v17, v16
	v_and_b32_e32 v17, 0xffff, v5
	v_mul_f16_e32 v5, v10, v23
	v_add_nc_u32_e32 v23, 0xfffffc10, v25
	s_wait_alu 0xfffd
	v_cndmask_b32_e64 v10, 0, 1, vcc_lo
	v_cmp_ne_u32_e32 vcc_lo, 0, v8
	v_bfe_u32 v24, v9, 20, 11
	v_fma_f16 v22, v6, v22, -v5
	global_store_b32 v[12:13], v18, off
	global_store_b32 v[0:1], v21, off
	v_mul_f64_e32 v[5:6], s[24:25], v[14:15]
	s_wait_alu 0xfffd
	v_cndmask_b32_e64 v8, 0, 1, vcc_lo
	v_lshrrev_b32_e32 v14, 8, v9
	v_cvt_f32_f16_e32 v15, v22
	v_or_b32_e32 v10, v19, v10
	v_lshl_or_b32 v19, v23, 12, v3
	v_sub_nc_u32_e32 v22, 0x3f1, v24
	v_and_or_b32 v8, 0xffe, v14, v8
	v_cmp_gt_i32_e32 vcc_lo, 1, v23
	v_cvt_f64_f32_e32 v[14:15], v15
	v_lshl_or_b32 v16, v16, 16, v17
	v_med3_i32 v22, v22, 0, 13
	v_lshrrev_b32_e32 v18, 16, v11
	s_wait_alu 0xfffd
	v_cndmask_b32_e32 v10, v19, v10, vcc_lo
	v_or_b32_e32 v19, 0x1000, v8
	v_add_co_u32 v0, vcc_lo, v0, s22
	s_wait_alu 0xfffd
	v_add_co_ci_u32_e32 v1, vcc_lo, s23, v1, vcc_lo
	s_delay_alu instid0(VALU_DEP_3)
	v_lshrrev_b32_e32 v13, v22, v19
	v_and_b32_e32 v12, 7, v10
	s_wait_loadcnt 0x1
	v_lshrrev_b32_e32 v21, 16, v7
	v_lshrrev_b32_e32 v10, 2, v10
	;; [unrolled: 1-line block ×3, first 2 shown]
	v_lshlrev_b32_e32 v17, v22, v13
	v_cmp_lt_i32_e32 vcc_lo, 5, v12
	v_cmp_eq_u32_e64 s0, 3, v12
	s_delay_alu instid0(VALU_DEP_3) | instskip(SKIP_1) | instid1(VALU_DEP_3)
	v_cmp_ne_u32_e64 s1, v17, v19
	v_mul_f16_e32 v19, v18, v21
	s_or_b32 vcc_lo, s0, vcc_lo
	v_add_nc_u32_e32 v17, 0xfffffc10, v24
	s_wait_alu 0xfffe
	v_add_co_ci_u32_e32 v10, vcc_lo, 0, v10, vcc_lo
	v_cndmask_b32_e64 v12, 0, 1, s1
	v_cmp_ne_u32_e32 vcc_lo, 0, v3
	v_fmac_f16_e32 v19, v11, v7
	v_and_or_b32 v5, 0x1ff, v6, v5
	v_bfe_u32 v24, v6, 20, 11
	v_or_b32_e32 v12, v13, v12
	v_lshl_or_b32 v13, v17, 12, v8
	s_wait_alu 0xfffd
	v_cndmask_b32_e64 v3, 0, 1, vcc_lo
	v_cmp_gt_i32_e32 vcc_lo, 1, v17
	v_cvt_f32_f16_e32 v19, v19
	v_cmp_eq_u32_e64 s1, 0x40f, v23
	v_mul_f16_e32 v11, v11, v21
	v_mul_f64_e32 v[14:15], s[24:25], v[14:15]
	s_wait_alu 0xfffd
	v_cndmask_b32_e32 v22, v13, v12, vcc_lo
	v_cmp_ne_u32_e32 vcc_lo, 0, v5
	v_cvt_f64_f32_e32 v[12:13], v19
	v_lshrrev_b32_e32 v19, 8, v6
	v_lshl_or_b32 v3, v3, 9, 0x7c00
	v_and_b32_e32 v25, 7, v22
	s_wait_alu 0xfffd
	v_cndmask_b32_e64 v5, 0, 1, vcc_lo
	v_cmp_gt_i32_e32 vcc_lo, 31, v23
	v_fma_f16 v7, v7, v18, -v11
	v_lshrrev_b32_e32 v6, 16, v6
	v_cmp_eq_u32_e64 s0, 3, v25
	v_and_or_b32 v19, 0xffe, v19, v5
	s_wait_alu 0xfffd
	v_cndmask_b32_e32 v10, 0x7c00, v10, vcc_lo
	v_sub_nc_u32_e32 v5, 0x3f1, v24
	v_cmp_lt_i32_e32 vcc_lo, 5, v25
	v_add_nc_u32_e32 v24, 0xfffffc10, v24
	v_or_b32_e32 v25, 0x1000, v19
	s_wait_alu 0xf1ff
	v_cndmask_b32_e64 v3, v10, v3, s1
	v_lshrrev_b32_e32 v10, 2, v22
	v_med3_i32 v5, v5, 0, 13
	s_or_b32 vcc_lo, s0, vcc_lo
	v_cvt_f32_f16_e32 v7, v7
	v_and_or_b32 v23, 0x8000, v4, v3
	s_wait_alu 0xfffe
	v_add_co_ci_u32_e32 v10, vcc_lo, 0, v10, vcc_lo
	v_lshrrev_b32_e32 v22, v5, v25
	v_cmp_ne_u32_e32 vcc_lo, 0, v8
	v_and_b32_e32 v21, 0xffff, v23
	s_wait_loadcnt 0x0
	v_lshrrev_b32_e32 v18, 16, v20
	v_lshlrev_b32_e32 v5, v5, v22
	s_wait_alu 0xfffd
	v_cndmask_b32_e64 v8, 0, 1, vcc_lo
	v_cmp_gt_i32_e32 vcc_lo, 31, v17
	s_delay_alu instid0(VALU_DEP_2)
	v_lshl_or_b32 v4, v8, 9, 0x7c00
	s_wait_alu 0xfffd
	v_cndmask_b32_e32 v3, 0x7c00, v10, vcc_lo
	v_cmp_ne_u32_e32 vcc_lo, v5, v25
	s_wait_alu 0xfffd
	v_cndmask_b32_e64 v5, 0, 1, vcc_lo
	v_cmp_eq_u32_e32 vcc_lo, 0x40f, v17
	v_lshl_or_b32 v17, v24, 12, v19
	s_delay_alu instid0(VALU_DEP_3)
	v_or_b32_e32 v10, v22, v5
	s_wait_alu 0xfffd
	v_cndmask_b32_e32 v8, v3, v4, vcc_lo
	v_mul_f64_e32 v[4:5], s[24:25], v[12:13]
	ds_load_2addr_b32 v[2:3], v2 offset0:129 offset1:164
	v_and_or_b32 v12, 0x1ff, v15, v14
	v_cmp_gt_i32_e32 vcc_lo, 1, v24
	v_bfe_u32 v13, v15, 20, 11
	v_and_or_b32 v9, 0x8000, v9, v8
	v_cvt_f64_f32_e32 v[7:8], v7
	s_wait_alu 0xfffd
	v_cndmask_b32_e32 v10, v17, v10, vcc_lo
	v_cmp_ne_u32_e32 vcc_lo, 0, v12
	v_lshrrev_b32_e32 v12, 8, v15
	v_lshl_or_b32 v21, v9, 16, v21
	v_lshrrev_b32_e32 v15, 16, v15
	v_and_b32_e32 v14, 7, v10
	s_wait_alu 0xfffd
	v_cndmask_b32_e64 v11, 0, 1, vcc_lo
	v_lshrrev_b32_e32 v9, 2, v10
	s_delay_alu instid0(VALU_DEP_3) | instskip(NEXT) | instid1(VALU_DEP_3)
	v_cmp_lt_i32_e32 vcc_lo, 5, v14
	v_and_or_b32 v17, 0xffe, v12, v11
	v_sub_nc_u32_e32 v11, 0x3f1, v13
	v_cmp_eq_u32_e64 s0, 3, v14
	s_wait_dscnt 0x0
	v_lshrrev_b32_e32 v12, 16, v2
	v_or_b32_e32 v22, 0x1000, v17
	v_med3_i32 v11, v11, 0, 13
	s_or_b32 vcc_lo, s0, vcc_lo
	s_delay_alu instid0(VALU_DEP_3)
	v_mul_f16_e32 v23, v12, v18
	s_wait_alu 0xfffe
	v_add_co_ci_u32_e32 v9, vcc_lo, 0, v9, vcc_lo
	v_lshrrev_b32_e32 v14, v11, v22
	v_cmp_ne_u32_e32 vcc_lo, 0, v19
	v_fmac_f16_e32 v23, v2, v20
	v_mul_f16_e32 v2, v2, v18
	s_delay_alu instid0(VALU_DEP_4)
	v_lshlrev_b32_e32 v11, v11, v14
	s_wait_alu 0xfffd
	v_cndmask_b32_e64 v10, 0, 1, vcc_lo
	v_cmp_gt_i32_e32 vcc_lo, 31, v24
	v_cvt_f32_f16_e32 v19, v23
	v_and_or_b32 v4, 0x1ff, v5, v4
	v_fma_f16 v2, v20, v12, -v2
	v_lshl_or_b32 v25, v10, 9, 0x7c00
	s_wait_alu 0xfffd
	v_cndmask_b32_e32 v23, 0x7c00, v9, vcc_lo
	v_cmp_ne_u32_e32 vcc_lo, v11, v22
	v_cvt_f64_f32_e32 v[9:10], v19
	v_add_nc_u32_e32 v19, 0xfffffc10, v13
	v_lshrrev_b32_e32 v13, 8, v5
	v_bfe_u32 v18, v5, 20, 11
	s_wait_alu 0xfffd
	v_cndmask_b32_e64 v11, 0, 1, vcc_lo
	v_cmp_ne_u32_e32 vcc_lo, 0, v4
	v_lshl_or_b32 v12, v19, 12, v17
	v_cvt_f32_f16_e32 v2, v2
	v_mul_f64_e32 v[7:8], s[24:25], v[7:8]
	v_or_b32_e32 v11, v14, v11
	s_wait_alu 0xfffd
	v_cndmask_b32_e64 v4, 0, 1, vcc_lo
	v_cmp_gt_i32_e32 vcc_lo, 1, v19
	v_lshrrev_b32_e32 v5, 16, v5
	s_delay_alu instid0(VALU_DEP_3)
	v_and_or_b32 v4, 0xffe, v13, v4
	s_wait_alu 0xfffd
	v_cndmask_b32_e32 v20, v12, v11, vcc_lo
	v_cmp_eq_u32_e32 vcc_lo, 0x40f, v24
	v_sub_nc_u32_e32 v13, 0x3f1, v18
	v_cvt_f64_f32_e32 v[11:12], v2
	v_or_b32_e32 v22, 0x1000, v4
	s_wait_alu 0xfffd
	v_dual_cndmask_b32 v2, v23, v25 :: v_dual_and_b32 v23, 7, v20
	v_med3_i32 v26, v13, 0, 13
	v_add_co_u32 v13, vcc_lo, v0, s22
	s_wait_alu 0xfffd
	v_add_co_ci_u32_e32 v14, vcc_lo, s23, v1, vcc_lo
	v_cmp_lt_i32_e32 vcc_lo, 5, v23
	v_cmp_eq_u32_e64 s0, 3, v23
	v_and_or_b32 v2, 0x8000, v6, v2
	v_lshrrev_b32_e32 v6, 2, v20
	v_lshrrev_b32_e32 v24, v26, v22
	s_delay_alu instid0(VALU_DEP_4) | instskip(NEXT) | instid1(VALU_DEP_3)
	s_or_b32 vcc_lo, s0, vcc_lo
	v_and_b32_e32 v2, 0xffff, v2
	s_wait_alu 0xfffe
	v_add_co_ci_u32_e32 v6, vcc_lo, 0, v6, vcc_lo
	v_lshlrev_b32_e32 v25, v26, v24
	v_cmp_ne_u32_e32 vcc_lo, 0, v17
	v_mul_f64_e32 v[9:10], s[24:25], v[9:10]
	s_delay_alu instid0(VALU_DEP_3)
	v_cmp_ne_u32_e64 s1, v25, v22
	s_wait_alu 0xfffd
	v_cndmask_b32_e64 v17, 0, 1, vcc_lo
	v_cmp_gt_i32_e32 vcc_lo, 31, v19
	v_and_or_b32 v7, 0x1ff, v8, v7
	v_lshrrev_b32_e32 v23, 8, v8
	s_wait_alu 0xf1ff
	v_cndmask_b32_e64 v20, 0, 1, s1
	v_lshl_or_b32 v17, v17, 9, 0x7c00
	s_wait_alu 0xfffd
	v_cndmask_b32_e32 v6, 0x7c00, v6, vcc_lo
	v_add_nc_u32_e32 v18, 0xfffffc10, v18
	v_or_b32_e32 v20, v24, v20
	s_delay_alu instid0(VALU_DEP_2) | instskip(SKIP_2) | instid1(VALU_DEP_2)
	v_lshl_or_b32 v22, v18, 12, v4
	v_cmp_gt_i32_e32 vcc_lo, 1, v18
	s_wait_alu 0xfffd
	v_cndmask_b32_e32 v20, v22, v20, vcc_lo
	v_cmp_eq_u32_e32 vcc_lo, 0x40f, v19
	s_delay_alu instid0(VALU_DEP_2)
	v_and_b32_e32 v19, 7, v20
	s_wait_alu 0xfffd
	v_cndmask_b32_e32 v17, v6, v17, vcc_lo
	v_cmp_ne_u32_e32 vcc_lo, 0, v7
	v_mul_f64_e32 v[6:7], s[24:25], v[11:12]
	v_bfe_u32 v11, v8, 20, 11
	v_cmp_eq_u32_e64 s0, 3, v19
	v_and_or_b32 v12, 0x8000, v15, v17
	s_wait_alu 0xfffd
	v_cndmask_b32_e64 v22, 0, 1, vcc_lo
	v_cmp_lt_i32_e32 vcc_lo, 5, v19
	v_sub_nc_u32_e32 v17, 0x3f1, v11
	v_add_nc_u32_e32 v11, 0xfffffc10, v11
	v_lshl_or_b32 v2, v12, 16, v2
	v_lshrrev_b32_e32 v12, 2, v20
	v_and_or_b32 v15, 0xffe, v23, v22
	s_or_b32 vcc_lo, s0, vcc_lo
	v_med3_i32 v17, v17, 0, 13
	v_and_or_b32 v9, 0x1ff, v10, v9
	s_wait_alu 0xfffe
	v_add_co_ci_u32_e32 v12, vcc_lo, 0, v12, vcc_lo
	v_or_b32_e32 v19, 0x1000, v15
	v_cmp_ne_u32_e32 vcc_lo, 0, v4
	v_lshrrev_b32_e32 v22, 8, v10
	v_bfe_u32 v23, v10, 20, 11
	v_lshrrev_b32_e32 v8, 16, v8
	v_lshrrev_b32_e32 v20, v17, v19
	s_wait_alu 0xfffd
	v_cndmask_b32_e64 v4, 0, 1, vcc_lo
	v_cmp_gt_i32_e32 vcc_lo, 31, v18
	v_lshrrev_b32_e32 v10, 16, v10
	v_lshlrev_b32_e32 v17, v17, v20
	s_delay_alu instid0(VALU_DEP_4)
	v_lshl_or_b32 v4, v4, 9, 0x7c00
	s_wait_alu 0xfffd
	v_cndmask_b32_e32 v12, 0x7c00, v12, vcc_lo
	v_cmp_ne_u32_e32 vcc_lo, 0, v9
	s_wait_alu 0xfffd
	v_cndmask_b32_e64 v9, 0, 1, vcc_lo
	v_cmp_ne_u32_e32 vcc_lo, v17, v19
	v_sub_nc_u32_e32 v19, 0x3f1, v23
	v_and_or_b32 v6, 0x1ff, v7, v6
	s_delay_alu instid0(VALU_DEP_4)
	v_and_or_b32 v9, 0xffe, v22, v9
	s_wait_alu 0xfffd
	v_cndmask_b32_e64 v17, 0, 1, vcc_lo
	v_cmp_eq_u32_e32 vcc_lo, 0x40f, v18
	v_med3_i32 v19, v19, 0, 13
	v_bfe_u32 v22, v7, 20, 11
	v_or_b32_e32 v18, 0x1000, v9
	s_wait_alu 0xfffd
	v_cndmask_b32_e32 v4, v12, v4, vcc_lo
	v_or_b32_e32 v12, v20, v17
	v_lshl_or_b32 v17, v11, 12, v15
	v_cmp_gt_i32_e32 vcc_lo, 1, v11
	v_lshrrev_b32_e32 v20, 8, v7
	v_and_or_b32 v4, 0x8000, v5, v4
	v_lshrrev_b32_e32 v7, 16, v7
	s_wait_alu 0xfffd
	v_cndmask_b32_e32 v12, v17, v12, vcc_lo
	v_lshrrev_b32_e32 v17, v19, v18
	v_cmp_ne_u32_e32 vcc_lo, 0, v6
	s_delay_alu instid0(VALU_DEP_3) | instskip(NEXT) | instid1(VALU_DEP_3)
	v_and_b32_e32 v24, 7, v12
	v_lshlrev_b32_e32 v19, v19, v17
	s_wait_alu 0xfffd
	v_cndmask_b32_e64 v6, 0, 1, vcc_lo
	v_lshrrev_b32_e32 v12, 2, v12
	v_cmp_lt_i32_e32 vcc_lo, 5, v24
	v_cmp_ne_u32_e64 s0, v19, v18
	s_delay_alu instid0(VALU_DEP_4)
	v_and_or_b32 v5, 0xffe, v20, v6
	v_sub_nc_u32_e32 v6, 0x3f1, v22
	v_add_nc_u32_e32 v20, 0xfffffc10, v23
	s_wait_alu 0xf1ff
	v_cndmask_b32_e64 v18, 0, 1, s0
	v_cmp_eq_u32_e64 s0, 3, v24
	v_or_b32_e32 v19, 0x1000, v5
	v_med3_i32 v6, v6, 0, 13
	v_lshl_or_b32 v23, v20, 12, v9
	v_or_b32_e32 v17, v17, v18
	s_or_b32 vcc_lo, s0, vcc_lo
	s_wait_alu 0xfffe
	v_add_co_ci_u32_e32 v12, vcc_lo, 0, v12, vcc_lo
	v_lshrrev_b32_e32 v18, v6, v19
	v_cmp_gt_i32_e32 vcc_lo, 1, v20
	s_wait_alu 0xfffd
	s_delay_alu instid0(VALU_DEP_2) | instskip(SKIP_3) | instid1(VALU_DEP_3)
	v_dual_cndmask_b32 v17, v23, v17 :: v_dual_lshlrev_b32 v6, v6, v18
	v_cmp_ne_u32_e32 vcc_lo, 0, v15
	s_wait_alu 0xfffd
	v_cndmask_b32_e64 v15, 0, 1, vcc_lo
	v_cmp_ne_u32_e32 vcc_lo, v6, v19
	v_add_nc_u32_e32 v19, 0xfffffc10, v22
	v_and_b32_e32 v22, 7, v17
	s_delay_alu instid0(VALU_DEP_4)
	v_lshl_or_b32 v15, v15, 9, 0x7c00
	s_wait_alu 0xfffd
	v_cndmask_b32_e64 v6, 0, 1, vcc_lo
	v_cmp_gt_i32_e32 vcc_lo, 31, v11
	v_cmp_gt_i32_e64 s1, 1, v19
	v_cmp_eq_u32_e64 s0, 3, v22
	s_delay_alu instid0(VALU_DEP_4)
	v_or_b32_e32 v6, v18, v6
	v_lshl_or_b32 v18, v19, 12, v5
	s_wait_alu 0xfffd
	v_cndmask_b32_e32 v12, 0x7c00, v12, vcc_lo
	v_cmp_lt_i32_e32 vcc_lo, 5, v22
	s_wait_alu 0xf1ff
	v_cndmask_b32_e64 v6, v18, v6, s1
	v_cmp_eq_u32_e64 s1, 0x40f, v11
	s_or_b32 vcc_lo, s0, vcc_lo
	s_delay_alu instid0(VALU_DEP_1)
	v_cndmask_b32_e64 v11, v12, v15, s1
	v_lshrrev_b32_e32 v12, 2, v17
	v_and_b32_e32 v15, 7, v6
	v_lshrrev_b32_e32 v6, 2, v6
	v_cmp_gt_i32_e64 s1, 31, v20
	v_and_or_b32 v8, 0x8000, v8, v11
	s_wait_alu 0xfffe
	v_add_co_ci_u32_e32 v12, vcc_lo, 0, v12, vcc_lo
	v_cmp_ne_u32_e32 vcc_lo, 0, v9
	v_cmp_eq_u32_e64 s0, 3, v15
	v_and_b32_e32 v11, 0xffff, v4
	s_wait_alu 0xf1ff
	v_cndmask_b32_e64 v12, 0x7c00, v12, s1
	s_wait_alu 0xfffd
	v_cndmask_b32_e64 v9, 0, 1, vcc_lo
	v_cmp_lt_i32_e32 vcc_lo, 5, v15
	s_delay_alu instid0(VALU_DEP_2)
	v_lshl_or_b32 v9, v9, 9, 0x7c00
	s_or_b32 vcc_lo, s0, vcc_lo
	s_wait_alu 0xfffe
	v_add_co_ci_u32_e32 v6, vcc_lo, 0, v6, vcc_lo
	v_cmp_ne_u32_e32 vcc_lo, 0, v5
	s_wait_alu 0xfffd
	v_cndmask_b32_e64 v5, 0, 1, vcc_lo
	v_cmp_eq_u32_e32 vcc_lo, 0x40f, v20
	s_delay_alu instid0(VALU_DEP_2) | instskip(SKIP_3) | instid1(VALU_DEP_2)
	v_lshl_or_b32 v5, v5, 9, 0x7c00
	s_wait_alu 0xfffd
	v_cndmask_b32_e32 v9, v12, v9, vcc_lo
	v_cmp_gt_i32_e32 vcc_lo, 31, v19
	v_and_or_b32 v9, 0x8000, v10, v9
	s_wait_alu 0xfffd
	v_cndmask_b32_e32 v6, 0x7c00, v6, vcc_lo
	v_cmp_eq_u32_e32 vcc_lo, 0x40f, v19
	v_lshl_or_b32 v10, v8, 16, v11
	v_and_b32_e32 v9, 0xffff, v9
	s_wait_alu 0xfffd
	v_cndmask_b32_e32 v6, v6, v5, vcc_lo
	v_add_co_u32 v4, vcc_lo, v13, s22
	s_wait_alu 0xfffd
	v_add_co_ci_u32_e32 v5, vcc_lo, s23, v14, vcc_lo
	s_delay_alu instid0(VALU_DEP_3) | instskip(NEXT) | instid1(VALU_DEP_3)
	v_and_or_b32 v8, 0x8000, v7, v6
	v_add_co_u32 v6, vcc_lo, v4, s22
	s_wait_alu 0xfffd
	s_delay_alu instid0(VALU_DEP_3) | instskip(NEXT) | instid1(VALU_DEP_3)
	v_add_co_ci_u32_e32 v7, vcc_lo, s23, v5, vcc_lo
	v_lshl_or_b32 v11, v8, 16, v9
	s_delay_alu instid0(VALU_DEP_3) | instskip(SKIP_1) | instid1(VALU_DEP_3)
	v_add_co_u32 v8, vcc_lo, v6, s22
	s_wait_alu 0xfffd
	v_add_co_ci_u32_e32 v9, vcc_lo, s23, v7, vcc_lo
	global_store_b32 v[0:1], v16, off
	global_store_b32 v[13:14], v21, off
	;; [unrolled: 1-line block ×5, first 2 shown]
	global_load_b32 v0, v31, s[20:21] offset:1680
	v_lshrrev_b32_e32 v1, 16, v3
	s_wait_loadcnt 0x0
	v_lshrrev_b32_e32 v2, 16, v0
	s_delay_alu instid0(VALU_DEP_1) | instskip(SKIP_1) | instid1(VALU_DEP_2)
	v_mul_f16_e32 v4, v1, v2
	v_mul_f16_e32 v2, v3, v2
	v_fmac_f16_e32 v4, v3, v0
	s_delay_alu instid0(VALU_DEP_2) | instskip(NEXT) | instid1(VALU_DEP_2)
	v_fma_f16 v0, v0, v1, -v2
	v_cvt_f32_f16_e32 v1, v4
	s_delay_alu instid0(VALU_DEP_2) | instskip(NEXT) | instid1(VALU_DEP_2)
	v_cvt_f32_f16_e32 v2, v0
	v_cvt_f64_f32_e32 v[0:1], v1
	s_delay_alu instid0(VALU_DEP_2) | instskip(NEXT) | instid1(VALU_DEP_2)
	v_cvt_f64_f32_e32 v[2:3], v2
	v_mul_f64_e32 v[0:1], s[24:25], v[0:1]
	s_delay_alu instid0(VALU_DEP_2) | instskip(NEXT) | instid1(VALU_DEP_2)
	v_mul_f64_e32 v[2:3], s[24:25], v[2:3]
	v_and_or_b32 v0, 0x1ff, v1, v0
	s_delay_alu instid0(VALU_DEP_2)
	v_and_or_b32 v2, 0x1ff, v3, v2
	v_lshrrev_b32_e32 v4, 8, v1
	v_bfe_u32 v5, v1, 20, 11
	v_lshrrev_b32_e32 v6, 8, v3
	v_cmp_ne_u32_e32 vcc_lo, 0, v0
	v_bfe_u32 v7, v3, 20, 11
	v_lshrrev_b32_e32 v1, 16, v1
	v_lshrrev_b32_e32 v3, 16, v3
	s_wait_alu 0xfffd
	v_cndmask_b32_e64 v0, 0, 1, vcc_lo
	v_cmp_ne_u32_e32 vcc_lo, 0, v2
	s_delay_alu instid0(VALU_DEP_2)
	v_and_or_b32 v0, 0xffe, v4, v0
	s_wait_alu 0xfffd
	v_cndmask_b32_e64 v2, 0, 1, vcc_lo
	v_sub_nc_u32_e32 v4, 0x3f1, v5
	v_add_nc_u32_e32 v5, 0xfffffc10, v5
	v_or_b32_e32 v10, 0x1000, v0
	s_delay_alu instid0(VALU_DEP_4) | instskip(SKIP_3) | instid1(VALU_DEP_4)
	v_and_or_b32 v2, 0xffe, v6, v2
	v_sub_nc_u32_e32 v6, 0x3f1, v7
	v_med3_i32 v4, v4, 0, 13
	v_add_nc_u32_e32 v7, 0xfffffc10, v7
	v_or_b32_e32 v11, 0x1000, v2
	s_delay_alu instid0(VALU_DEP_4) | instskip(NEXT) | instid1(VALU_DEP_4)
	v_med3_i32 v6, v6, 0, 13
	v_lshrrev_b32_e32 v12, v4, v10
	s_delay_alu instid0(VALU_DEP_2) | instskip(NEXT) | instid1(VALU_DEP_2)
	v_lshrrev_b32_e32 v13, v6, v11
	v_lshlrev_b32_e32 v4, v4, v12
	s_delay_alu instid0(VALU_DEP_2) | instskip(NEXT) | instid1(VALU_DEP_2)
	v_lshlrev_b32_e32 v6, v6, v13
	v_cmp_ne_u32_e32 vcc_lo, v4, v10
	v_lshl_or_b32 v10, v5, 12, v0
	s_wait_alu 0xfffd
	v_cndmask_b32_e64 v4, 0, 1, vcc_lo
	v_cmp_ne_u32_e32 vcc_lo, v6, v11
	v_lshl_or_b32 v11, v7, 12, v2
	s_delay_alu instid0(VALU_DEP_3) | instskip(SKIP_3) | instid1(VALU_DEP_2)
	v_or_b32_e32 v4, v12, v4
	s_wait_alu 0xfffd
	v_cndmask_b32_e64 v6, 0, 1, vcc_lo
	v_cmp_gt_i32_e32 vcc_lo, 1, v5
	v_or_b32_e32 v6, v13, v6
	s_wait_alu 0xfffd
	v_cndmask_b32_e32 v4, v10, v4, vcc_lo
	v_cmp_gt_i32_e32 vcc_lo, 1, v7
	s_delay_alu instid0(VALU_DEP_2) | instskip(SKIP_3) | instid1(VALU_DEP_3)
	v_and_b32_e32 v10, 7, v4
	s_wait_alu 0xfffd
	v_cndmask_b32_e32 v6, v11, v6, vcc_lo
	v_lshrrev_b32_e32 v4, 2, v4
	v_cmp_lt_i32_e32 vcc_lo, 5, v10
	v_cmp_eq_u32_e64 s0, 3, v10
	s_delay_alu instid0(VALU_DEP_4) | instskip(SKIP_1) | instid1(VALU_DEP_3)
	v_and_b32_e32 v11, 7, v6
	v_lshrrev_b32_e32 v6, 2, v6
	s_or_b32 vcc_lo, s0, vcc_lo
	s_delay_alu instid0(VALU_DEP_2)
	v_cmp_lt_i32_e64 s1, 5, v11
	s_wait_alu 0xfffe
	v_add_co_ci_u32_e32 v4, vcc_lo, 0, v4, vcc_lo
	v_cmp_eq_u32_e64 s2, 3, v11
	v_cmp_ne_u32_e32 vcc_lo, 0, v0
	s_wait_alu 0xfffd
	v_cndmask_b32_e64 v0, 0, 1, vcc_lo
	s_delay_alu instid0(VALU_DEP_3)
	s_or_b32 vcc_lo, s2, s1
	s_wait_alu 0xfffe
	v_add_co_ci_u32_e32 v6, vcc_lo, 0, v6, vcc_lo
	v_cmp_ne_u32_e32 vcc_lo, 0, v2
	v_lshl_or_b32 v0, v0, 9, 0x7c00
	s_wait_alu 0xfffd
	v_cndmask_b32_e64 v2, 0, 1, vcc_lo
	v_cmp_gt_i32_e32 vcc_lo, 31, v5
	s_delay_alu instid0(VALU_DEP_2)
	v_lshl_or_b32 v2, v2, 9, 0x7c00
	s_wait_alu 0xfffd
	v_cndmask_b32_e32 v4, 0x7c00, v4, vcc_lo
	v_cmp_gt_i32_e32 vcc_lo, 31, v7
	s_wait_alu 0xfffd
	v_cndmask_b32_e32 v6, 0x7c00, v6, vcc_lo
	v_cmp_eq_u32_e32 vcc_lo, 0x40f, v5
	s_wait_alu 0xfffd
	v_cndmask_b32_e32 v0, v4, v0, vcc_lo
	v_cmp_eq_u32_e32 vcc_lo, 0x40f, v7
	s_delay_alu instid0(VALU_DEP_2) | instskip(SKIP_2) | instid1(VALU_DEP_2)
	v_and_or_b32 v0, 0x8000, v1, v0
	s_wait_alu 0xfffd
	v_cndmask_b32_e32 v2, v6, v2, vcc_lo
	v_and_b32_e32 v0, 0xffff, v0
	s_delay_alu instid0(VALU_DEP_2) | instskip(NEXT) | instid1(VALU_DEP_1)
	v_and_or_b32 v1, 0x8000, v3, v2
	v_lshl_or_b32 v2, v1, 16, v0
	v_add_co_u32 v0, vcc_lo, v8, s22
	s_wait_alu 0xfffd
	v_add_co_ci_u32_e32 v1, vcc_lo, s23, v9, vcc_lo
	global_store_b32 v[0:1], v2, off
.LBB0_23:
	s_nop 0
	s_sendmsg sendmsg(MSG_DEALLOC_VGPRS)
	s_endpgm
	.section	.rodata,"a",@progbits
	.p2align	6, 0x0
	.amdhsa_kernel bluestein_single_back_len455_dim1_half_op_CI_CI
		.amdhsa_group_segment_fixed_size 5460
		.amdhsa_private_segment_fixed_size 0
		.amdhsa_kernarg_size 104
		.amdhsa_user_sgpr_count 2
		.amdhsa_user_sgpr_dispatch_ptr 0
		.amdhsa_user_sgpr_queue_ptr 0
		.amdhsa_user_sgpr_kernarg_segment_ptr 1
		.amdhsa_user_sgpr_dispatch_id 0
		.amdhsa_user_sgpr_private_segment_size 0
		.amdhsa_wavefront_size32 1
		.amdhsa_uses_dynamic_stack 0
		.amdhsa_enable_private_segment 0
		.amdhsa_system_sgpr_workgroup_id_x 1
		.amdhsa_system_sgpr_workgroup_id_y 0
		.amdhsa_system_sgpr_workgroup_id_z 0
		.amdhsa_system_sgpr_workgroup_info 0
		.amdhsa_system_vgpr_workitem_id 0
		.amdhsa_next_free_vgpr 131
		.amdhsa_next_free_sgpr 26
		.amdhsa_reserve_vcc 1
		.amdhsa_float_round_mode_32 0
		.amdhsa_float_round_mode_16_64 0
		.amdhsa_float_denorm_mode_32 3
		.amdhsa_float_denorm_mode_16_64 3
		.amdhsa_fp16_overflow 0
		.amdhsa_workgroup_processor_mode 1
		.amdhsa_memory_ordered 1
		.amdhsa_forward_progress 0
		.amdhsa_round_robin_scheduling 0
		.amdhsa_exception_fp_ieee_invalid_op 0
		.amdhsa_exception_fp_denorm_src 0
		.amdhsa_exception_fp_ieee_div_zero 0
		.amdhsa_exception_fp_ieee_overflow 0
		.amdhsa_exception_fp_ieee_underflow 0
		.amdhsa_exception_fp_ieee_inexact 0
		.amdhsa_exception_int_div_zero 0
	.end_amdhsa_kernel
	.text
.Lfunc_end0:
	.size	bluestein_single_back_len455_dim1_half_op_CI_CI, .Lfunc_end0-bluestein_single_back_len455_dim1_half_op_CI_CI
                                        ; -- End function
	.section	.AMDGPU.csdata,"",@progbits
; Kernel info:
; codeLenInByte = 22004
; NumSgprs: 28
; NumVgprs: 131
; ScratchSize: 0
; MemoryBound: 0
; FloatMode: 240
; IeeeMode: 1
; LDSByteSize: 5460 bytes/workgroup (compile time only)
; SGPRBlocks: 3
; VGPRBlocks: 16
; NumSGPRsForWavesPerEU: 28
; NumVGPRsForWavesPerEU: 131
; Occupancy: 10
; WaveLimiterHint : 1
; COMPUTE_PGM_RSRC2:SCRATCH_EN: 0
; COMPUTE_PGM_RSRC2:USER_SGPR: 2
; COMPUTE_PGM_RSRC2:TRAP_HANDLER: 0
; COMPUTE_PGM_RSRC2:TGID_X_EN: 1
; COMPUTE_PGM_RSRC2:TGID_Y_EN: 0
; COMPUTE_PGM_RSRC2:TGID_Z_EN: 0
; COMPUTE_PGM_RSRC2:TIDIG_COMP_CNT: 0
	.text
	.p2alignl 7, 3214868480
	.fill 96, 4, 3214868480
	.type	__hip_cuid_7f3df6c2a7c04cc7,@object ; @__hip_cuid_7f3df6c2a7c04cc7
	.section	.bss,"aw",@nobits
	.globl	__hip_cuid_7f3df6c2a7c04cc7
__hip_cuid_7f3df6c2a7c04cc7:
	.byte	0                               ; 0x0
	.size	__hip_cuid_7f3df6c2a7c04cc7, 1

	.ident	"AMD clang version 19.0.0git (https://github.com/RadeonOpenCompute/llvm-project roc-6.4.0 25133 c7fe45cf4b819c5991fe208aaa96edf142730f1d)"
	.section	".note.GNU-stack","",@progbits
	.addrsig
	.addrsig_sym __hip_cuid_7f3df6c2a7c04cc7
	.amdgpu_metadata
---
amdhsa.kernels:
  - .args:
      - .actual_access:  read_only
        .address_space:  global
        .offset:         0
        .size:           8
        .value_kind:     global_buffer
      - .actual_access:  read_only
        .address_space:  global
        .offset:         8
        .size:           8
        .value_kind:     global_buffer
      - .actual_access:  read_only
        .address_space:  global
        .offset:         16
        .size:           8
        .value_kind:     global_buffer
      - .actual_access:  read_only
        .address_space:  global
        .offset:         24
        .size:           8
        .value_kind:     global_buffer
      - .actual_access:  read_only
        .address_space:  global
        .offset:         32
        .size:           8
        .value_kind:     global_buffer
      - .offset:         40
        .size:           8
        .value_kind:     by_value
      - .address_space:  global
        .offset:         48
        .size:           8
        .value_kind:     global_buffer
      - .address_space:  global
        .offset:         56
        .size:           8
        .value_kind:     global_buffer
      - .address_space:  global
        .offset:         64
        .size:           8
        .value_kind:     global_buffer
      - .address_space:  global
        .offset:         72
        .size:           8
        .value_kind:     global_buffer
      - .offset:         80
        .size:           4
        .value_kind:     by_value
      - .address_space:  global
        .offset:         88
        .size:           8
        .value_kind:     global_buffer
      - .address_space:  global
        .offset:         96
        .size:           8
        .value_kind:     global_buffer
    .group_segment_fixed_size: 5460
    .kernarg_segment_align: 8
    .kernarg_segment_size: 104
    .language:       OpenCL C
    .language_version:
      - 2
      - 0
    .max_flat_workgroup_size: 195
    .name:           bluestein_single_back_len455_dim1_half_op_CI_CI
    .private_segment_fixed_size: 0
    .sgpr_count:     28
    .sgpr_spill_count: 0
    .symbol:         bluestein_single_back_len455_dim1_half_op_CI_CI.kd
    .uniform_work_group_size: 1
    .uses_dynamic_stack: false
    .vgpr_count:     131
    .vgpr_spill_count: 0
    .wavefront_size: 32
    .workgroup_processor_mode: 1
amdhsa.target:   amdgcn-amd-amdhsa--gfx1201
amdhsa.version:
  - 1
  - 2
...

	.end_amdgpu_metadata
